;; amdgpu-corpus repo=ROCm/rocFFT kind=compiled arch=gfx1201 opt=O3
	.text
	.amdgcn_target "amdgcn-amd-amdhsa--gfx1201"
	.amdhsa_code_object_version 6
	.protected	fft_rtc_fwd_len840_factors_2_2_2_3_5_7_wgs_56_tpt_56_halfLds_sp_ip_CI_sbrr_dirReg ; -- Begin function fft_rtc_fwd_len840_factors_2_2_2_3_5_7_wgs_56_tpt_56_halfLds_sp_ip_CI_sbrr_dirReg
	.globl	fft_rtc_fwd_len840_factors_2_2_2_3_5_7_wgs_56_tpt_56_halfLds_sp_ip_CI_sbrr_dirReg
	.p2align	8
	.type	fft_rtc_fwd_len840_factors_2_2_2_3_5_7_wgs_56_tpt_56_halfLds_sp_ip_CI_sbrr_dirReg,@function
fft_rtc_fwd_len840_factors_2_2_2_3_5_7_wgs_56_tpt_56_halfLds_sp_ip_CI_sbrr_dirReg: ; @fft_rtc_fwd_len840_factors_2_2_2_3_5_7_wgs_56_tpt_56_halfLds_sp_ip_CI_sbrr_dirReg
; %bb.0:
	s_clause 0x2
	s_load_b64 s[12:13], s[0:1], 0x18
	s_load_b128 s[4:7], s[0:1], 0x0
	s_load_b64 s[10:11], s[0:1], 0x50
	v_mul_u32_u24_e32 v1, 0x493, v0
	v_mov_b32_e32 v3, 0
	s_delay_alu instid0(VALU_DEP_2) | instskip(NEXT) | instid1(VALU_DEP_1)
	v_lshrrev_b32_e32 v1, 16, v1
	v_add_nc_u32_e32 v5, ttmp9, v1
	v_mov_b32_e32 v1, 0
	v_mov_b32_e32 v2, 0
	;; [unrolled: 1-line block ×3, first 2 shown]
	s_wait_kmcnt 0x0
	s_load_b64 s[8:9], s[12:13], 0x0
	v_cmp_lt_u64_e64 s2, s[6:7], 2
	s_delay_alu instid0(VALU_DEP_1)
	s_and_b32 vcc_lo, exec_lo, s2
	s_cbranch_vccnz .LBB0_8
; %bb.1:
	s_load_b64 s[2:3], s[0:1], 0x10
	v_mov_b32_e32 v1, 0
	v_mov_b32_e32 v2, 0
	s_add_nc_u64 s[14:15], s[12:13], 8
	s_mov_b64 s[16:17], 1
	s_wait_kmcnt 0x0
	s_add_nc_u64 s[18:19], s[2:3], 8
	s_mov_b32 s3, 0
.LBB0_2:                                ; =>This Inner Loop Header: Depth=1
	s_load_b64 s[20:21], s[18:19], 0x0
                                        ; implicit-def: $vgpr7_vgpr8
	s_mov_b32 s2, exec_lo
	s_wait_kmcnt 0x0
	v_or_b32_e32 v4, s21, v6
	s_delay_alu instid0(VALU_DEP_1)
	v_cmpx_ne_u64_e32 0, v[3:4]
	s_wait_alu 0xfffe
	s_xor_b32 s22, exec_lo, s2
	s_cbranch_execz .LBB0_4
; %bb.3:                                ;   in Loop: Header=BB0_2 Depth=1
	s_cvt_f32_u32 s2, s20
	s_cvt_f32_u32 s23, s21
	s_sub_nc_u64 s[26:27], 0, s[20:21]
	s_wait_alu 0xfffe
	s_delay_alu instid0(SALU_CYCLE_1) | instskip(SKIP_1) | instid1(SALU_CYCLE_2)
	s_fmamk_f32 s2, s23, 0x4f800000, s2
	s_wait_alu 0xfffe
	v_s_rcp_f32 s2, s2
	s_delay_alu instid0(TRANS32_DEP_1) | instskip(SKIP_1) | instid1(SALU_CYCLE_2)
	s_mul_f32 s2, s2, 0x5f7ffffc
	s_wait_alu 0xfffe
	s_mul_f32 s23, s2, 0x2f800000
	s_wait_alu 0xfffe
	s_delay_alu instid0(SALU_CYCLE_2) | instskip(SKIP_1) | instid1(SALU_CYCLE_2)
	s_trunc_f32 s23, s23
	s_wait_alu 0xfffe
	s_fmamk_f32 s2, s23, 0xcf800000, s2
	s_cvt_u32_f32 s25, s23
	s_wait_alu 0xfffe
	s_delay_alu instid0(SALU_CYCLE_1) | instskip(SKIP_1) | instid1(SALU_CYCLE_2)
	s_cvt_u32_f32 s24, s2
	s_wait_alu 0xfffe
	s_mul_u64 s[28:29], s[26:27], s[24:25]
	s_wait_alu 0xfffe
	s_mul_hi_u32 s31, s24, s29
	s_mul_i32 s30, s24, s29
	s_mul_hi_u32 s2, s24, s28
	s_mul_i32 s33, s25, s28
	s_wait_alu 0xfffe
	s_add_nc_u64 s[30:31], s[2:3], s[30:31]
	s_mul_hi_u32 s23, s25, s28
	s_mul_hi_u32 s34, s25, s29
	s_add_co_u32 s2, s30, s33
	s_wait_alu 0xfffe
	s_add_co_ci_u32 s2, s31, s23
	s_mul_i32 s28, s25, s29
	s_add_co_ci_u32 s29, s34, 0
	s_wait_alu 0xfffe
	s_add_nc_u64 s[28:29], s[2:3], s[28:29]
	s_wait_alu 0xfffe
	v_add_co_u32 v4, s2, s24, s28
	s_delay_alu instid0(VALU_DEP_1) | instskip(SKIP_1) | instid1(VALU_DEP_1)
	s_cmp_lg_u32 s2, 0
	s_add_co_ci_u32 s25, s25, s29
	v_readfirstlane_b32 s24, v4
	s_wait_alu 0xfffe
	s_delay_alu instid0(VALU_DEP_1)
	s_mul_u64 s[26:27], s[26:27], s[24:25]
	s_wait_alu 0xfffe
	s_mul_hi_u32 s29, s24, s27
	s_mul_i32 s28, s24, s27
	s_mul_hi_u32 s2, s24, s26
	s_mul_i32 s30, s25, s26
	s_wait_alu 0xfffe
	s_add_nc_u64 s[28:29], s[2:3], s[28:29]
	s_mul_hi_u32 s23, s25, s26
	s_mul_hi_u32 s24, s25, s27
	s_wait_alu 0xfffe
	s_add_co_u32 s2, s28, s30
	s_add_co_ci_u32 s2, s29, s23
	s_mul_i32 s26, s25, s27
	s_add_co_ci_u32 s27, s24, 0
	s_wait_alu 0xfffe
	s_add_nc_u64 s[26:27], s[2:3], s[26:27]
	s_wait_alu 0xfffe
	v_add_co_u32 v4, s2, v4, s26
	s_delay_alu instid0(VALU_DEP_1) | instskip(SKIP_1) | instid1(VALU_DEP_1)
	s_cmp_lg_u32 s2, 0
	s_add_co_ci_u32 s2, s25, s27
	v_mul_hi_u32 v13, v5, v4
	s_wait_alu 0xfffe
	v_mad_co_u64_u32 v[7:8], null, v5, s2, 0
	v_mad_co_u64_u32 v[9:10], null, v6, v4, 0
	;; [unrolled: 1-line block ×3, first 2 shown]
	s_delay_alu instid0(VALU_DEP_3) | instskip(SKIP_1) | instid1(VALU_DEP_4)
	v_add_co_u32 v4, vcc_lo, v13, v7
	s_wait_alu 0xfffd
	v_add_co_ci_u32_e32 v7, vcc_lo, 0, v8, vcc_lo
	s_delay_alu instid0(VALU_DEP_2) | instskip(SKIP_1) | instid1(VALU_DEP_2)
	v_add_co_u32 v4, vcc_lo, v4, v9
	s_wait_alu 0xfffd
	v_add_co_ci_u32_e32 v4, vcc_lo, v7, v10, vcc_lo
	s_wait_alu 0xfffd
	v_add_co_ci_u32_e32 v7, vcc_lo, 0, v12, vcc_lo
	s_delay_alu instid0(VALU_DEP_2) | instskip(SKIP_1) | instid1(VALU_DEP_2)
	v_add_co_u32 v4, vcc_lo, v4, v11
	s_wait_alu 0xfffd
	v_add_co_ci_u32_e32 v9, vcc_lo, 0, v7, vcc_lo
	s_delay_alu instid0(VALU_DEP_2) | instskip(SKIP_1) | instid1(VALU_DEP_3)
	v_mul_lo_u32 v10, s21, v4
	v_mad_co_u64_u32 v[7:8], null, s20, v4, 0
	v_mul_lo_u32 v11, s20, v9
	s_delay_alu instid0(VALU_DEP_2) | instskip(NEXT) | instid1(VALU_DEP_2)
	v_sub_co_u32 v7, vcc_lo, v5, v7
	v_add3_u32 v8, v8, v11, v10
	s_delay_alu instid0(VALU_DEP_1) | instskip(SKIP_1) | instid1(VALU_DEP_1)
	v_sub_nc_u32_e32 v10, v6, v8
	s_wait_alu 0xfffd
	v_subrev_co_ci_u32_e64 v10, s2, s21, v10, vcc_lo
	v_add_co_u32 v11, s2, v4, 2
	s_wait_alu 0xf1ff
	v_add_co_ci_u32_e64 v12, s2, 0, v9, s2
	v_sub_co_u32 v13, s2, v7, s20
	v_sub_co_ci_u32_e32 v8, vcc_lo, v6, v8, vcc_lo
	s_wait_alu 0xf1ff
	v_subrev_co_ci_u32_e64 v10, s2, 0, v10, s2
	s_delay_alu instid0(VALU_DEP_3) | instskip(NEXT) | instid1(VALU_DEP_3)
	v_cmp_le_u32_e32 vcc_lo, s20, v13
	v_cmp_eq_u32_e64 s2, s21, v8
	s_wait_alu 0xfffd
	v_cndmask_b32_e64 v13, 0, -1, vcc_lo
	v_cmp_le_u32_e32 vcc_lo, s21, v10
	s_wait_alu 0xfffd
	v_cndmask_b32_e64 v14, 0, -1, vcc_lo
	v_cmp_le_u32_e32 vcc_lo, s20, v7
	;; [unrolled: 3-line block ×3, first 2 shown]
	s_wait_alu 0xfffd
	v_cndmask_b32_e64 v15, 0, -1, vcc_lo
	v_cmp_eq_u32_e32 vcc_lo, s21, v10
	s_wait_alu 0xf1ff
	s_delay_alu instid0(VALU_DEP_2)
	v_cndmask_b32_e64 v7, v15, v7, s2
	s_wait_alu 0xfffd
	v_cndmask_b32_e32 v10, v14, v13, vcc_lo
	v_add_co_u32 v13, vcc_lo, v4, 1
	s_wait_alu 0xfffd
	v_add_co_ci_u32_e32 v14, vcc_lo, 0, v9, vcc_lo
	s_delay_alu instid0(VALU_DEP_3) | instskip(SKIP_2) | instid1(VALU_DEP_3)
	v_cmp_ne_u32_e32 vcc_lo, 0, v10
	s_wait_alu 0xfffd
	v_cndmask_b32_e32 v10, v13, v11, vcc_lo
	v_cndmask_b32_e32 v8, v14, v12, vcc_lo
	v_cmp_ne_u32_e32 vcc_lo, 0, v7
	s_wait_alu 0xfffd
	s_delay_alu instid0(VALU_DEP_2)
	v_dual_cndmask_b32 v7, v4, v10 :: v_dual_cndmask_b32 v8, v9, v8
.LBB0_4:                                ;   in Loop: Header=BB0_2 Depth=1
	s_wait_alu 0xfffe
	s_and_not1_saveexec_b32 s2, s22
	s_cbranch_execz .LBB0_6
; %bb.5:                                ;   in Loop: Header=BB0_2 Depth=1
	v_cvt_f32_u32_e32 v4, s20
	s_sub_co_i32 s22, 0, s20
	s_delay_alu instid0(VALU_DEP_1) | instskip(NEXT) | instid1(TRANS32_DEP_1)
	v_rcp_iflag_f32_e32 v4, v4
	v_mul_f32_e32 v4, 0x4f7ffffe, v4
	s_delay_alu instid0(VALU_DEP_1) | instskip(SKIP_1) | instid1(VALU_DEP_1)
	v_cvt_u32_f32_e32 v4, v4
	s_wait_alu 0xfffe
	v_mul_lo_u32 v7, s22, v4
	s_delay_alu instid0(VALU_DEP_1) | instskip(NEXT) | instid1(VALU_DEP_1)
	v_mul_hi_u32 v7, v4, v7
	v_add_nc_u32_e32 v4, v4, v7
	s_delay_alu instid0(VALU_DEP_1) | instskip(NEXT) | instid1(VALU_DEP_1)
	v_mul_hi_u32 v4, v5, v4
	v_mul_lo_u32 v7, v4, s20
	v_add_nc_u32_e32 v8, 1, v4
	s_delay_alu instid0(VALU_DEP_2) | instskip(NEXT) | instid1(VALU_DEP_1)
	v_sub_nc_u32_e32 v7, v5, v7
	v_subrev_nc_u32_e32 v9, s20, v7
	v_cmp_le_u32_e32 vcc_lo, s20, v7
	s_wait_alu 0xfffd
	s_delay_alu instid0(VALU_DEP_2) | instskip(NEXT) | instid1(VALU_DEP_1)
	v_dual_cndmask_b32 v7, v7, v9 :: v_dual_cndmask_b32 v4, v4, v8
	v_cmp_le_u32_e32 vcc_lo, s20, v7
	s_delay_alu instid0(VALU_DEP_2) | instskip(SKIP_1) | instid1(VALU_DEP_1)
	v_add_nc_u32_e32 v8, 1, v4
	s_wait_alu 0xfffd
	v_dual_cndmask_b32 v7, v4, v8 :: v_dual_mov_b32 v8, v3
.LBB0_6:                                ;   in Loop: Header=BB0_2 Depth=1
	s_wait_alu 0xfffe
	s_or_b32 exec_lo, exec_lo, s2
	s_load_b64 s[22:23], s[14:15], 0x0
	s_delay_alu instid0(VALU_DEP_1)
	v_mul_lo_u32 v4, v8, s20
	v_mul_lo_u32 v11, v7, s21
	v_mad_co_u64_u32 v[9:10], null, v7, s20, 0
	s_add_nc_u64 s[16:17], s[16:17], 1
	s_add_nc_u64 s[14:15], s[14:15], 8
	s_wait_alu 0xfffe
	v_cmp_ge_u64_e64 s2, s[16:17], s[6:7]
	s_add_nc_u64 s[18:19], s[18:19], 8
	s_delay_alu instid0(VALU_DEP_2) | instskip(NEXT) | instid1(VALU_DEP_3)
	v_add3_u32 v4, v10, v11, v4
	v_sub_co_u32 v5, vcc_lo, v5, v9
	s_wait_alu 0xfffd
	s_delay_alu instid0(VALU_DEP_2) | instskip(SKIP_3) | instid1(VALU_DEP_2)
	v_sub_co_ci_u32_e32 v4, vcc_lo, v6, v4, vcc_lo
	s_and_b32 vcc_lo, exec_lo, s2
	s_wait_kmcnt 0x0
	v_mul_lo_u32 v6, s23, v5
	v_mul_lo_u32 v4, s22, v4
	v_mad_co_u64_u32 v[1:2], null, s22, v5, v[1:2]
	s_delay_alu instid0(VALU_DEP_1)
	v_add3_u32 v2, v6, v2, v4
	s_wait_alu 0xfffe
	s_cbranch_vccnz .LBB0_9
; %bb.7:                                ;   in Loop: Header=BB0_2 Depth=1
	v_dual_mov_b32 v5, v7 :: v_dual_mov_b32 v6, v8
	s_branch .LBB0_2
.LBB0_8:
	v_dual_mov_b32 v8, v6 :: v_dual_mov_b32 v7, v5
.LBB0_9:
	s_lshl_b64 s[2:3], s[6:7], 3
	v_mul_hi_u32 v3, 0x4924925, v0
	s_wait_alu 0xfffe
	s_add_nc_u64 s[2:3], s[12:13], s[2:3]
	s_load_b64 s[0:1], s[0:1], 0x20
	s_load_b64 s[2:3], s[2:3], 0x0
                                        ; implicit-def: $vgpr39
	s_delay_alu instid0(VALU_DEP_1) | instskip(NEXT) | instid1(VALU_DEP_1)
	v_mul_u32_u24_e32 v3, 56, v3
	v_sub_nc_u32_e32 v72, v0, v3
	s_delay_alu instid0(VALU_DEP_1)
	v_add_nc_u32_e32 v64, 56, v72
	v_add_nc_u32_e32 v73, 0x70, v72
	;; [unrolled: 1-line block ×4, first 2 shown]
	s_wait_kmcnt 0x0
	v_cmp_gt_u64_e32 vcc_lo, s[0:1], v[7:8]
	v_mul_lo_u32 v3, s2, v8
	v_mul_lo_u32 v4, s3, v7
	v_mad_co_u64_u32 v[0:1], null, s2, v7, v[1:2]
	v_cmp_le_u64_e64 s0, s[0:1], v[7:8]
	v_add_nc_u32_e32 v42, 0x118, v72
	v_add_nc_u32_e32 v43, 0x150, v72
                                        ; implicit-def: $sgpr2
	s_delay_alu instid0(VALU_DEP_4) | instskip(NEXT) | instid1(VALU_DEP_4)
	v_add3_u32 v1, v4, v1, v3
	s_and_saveexec_b32 s1, s0
	s_wait_alu 0xfffe
	s_xor_b32 s0, exec_lo, s1
; %bb.10:
	v_add_nc_u32_e32 v39, 56, v72
	v_add_nc_u32_e32 v73, 0x70, v72
	;; [unrolled: 1-line block ×6, first 2 shown]
	s_mov_b32 s2, 0
; %bb.11:
	s_wait_alu 0xfffe
	s_or_saveexec_b32 s1, s0
	v_lshlrev_b64_e32 v[28:29], 3, v[0:1]
	v_dual_mov_b32 v18, s2 :: v_dual_mov_b32 v17, s2
                                        ; implicit-def: $vgpr1
                                        ; implicit-def: $vgpr5
                                        ; implicit-def: $vgpr3
                                        ; implicit-def: $vgpr12
                                        ; implicit-def: $vgpr10
                                        ; implicit-def: $vgpr14
                                        ; implicit-def: $vgpr20
                                        ; implicit-def: $vgpr31
                                        ; implicit-def: $vgpr22
                                        ; implicit-def: $vgpr34
                                        ; implicit-def: $vgpr25
                                        ; implicit-def: $vgpr38
                                        ; implicit-def: $vgpr36
                                        ; implicit-def: $vgpr16
                                        ; implicit-def: $vgpr7
	s_wait_alu 0xfffe
	s_xor_b32 exec_lo, exec_lo, s1
	s_cbranch_execz .LBB0_15
; %bb.12:
	v_add_nc_u32_e32 v8, 0x1a4, v72
	v_mad_co_u64_u32 v[0:1], null, s8, v72, 0
	v_mad_co_u64_u32 v[4:5], null, s8, v64, 0
	s_delay_alu instid0(VALU_DEP_3)
	v_mad_co_u64_u32 v[2:3], null, s8, v8, 0
	v_add_nc_u32_e32 v11, 0x1dc, v72
	v_add_nc_u32_e32 v19, 0x214, v72
	s_mov_b32 s2, exec_lo
	v_add_nc_u32_e32 v22, 0x24c, v72
	v_add_nc_u32_e32 v33, 0x2bc, v72
	v_mad_co_u64_u32 v[9:10], null, s8, v11, 0
	v_mad_co_u64_u32 v[6:7], null, s9, v72, v[1:2]
	v_mov_b32_e32 v1, v3
	v_mov_b32_e32 v3, v5
	v_mad_co_u64_u32 v[13:14], null, s8, v19, 0
	s_delay_alu instid0(VALU_DEP_3) | instskip(SKIP_1) | instid1(VALU_DEP_4)
	v_mad_co_u64_u32 v[7:8], null, s9, v8, v[1:2]
	v_mov_b32_e32 v1, v6
	v_mad_co_u64_u32 v[5:6], null, s9, v64, v[3:4]
	v_mov_b32_e32 v6, v10
	v_add_co_u32 v8, s0, s10, v28
	v_mov_b32_e32 v3, v7
	s_wait_alu 0xf1ff
	v_add_co_ci_u32_e64 v23, s0, s11, v29, s0
	v_mad_co_u64_u32 v[6:7], null, s9, v11, v[6:7]
	v_mad_co_u64_u32 v[11:12], null, s8, v73, 0
	v_lshlrev_b64_e32 v[4:5], 3, v[4:5]
	s_delay_alu instid0(VALU_DEP_3) | instskip(NEXT) | instid1(VALU_DEP_3)
	v_mov_b32_e32 v10, v6
	v_mov_b32_e32 v6, v12
	v_lshlrev_b64_e32 v[0:1], 3, v[0:1]
	s_delay_alu instid0(VALU_DEP_2) | instskip(NEXT) | instid1(VALU_DEP_2)
	v_mad_co_u64_u32 v[6:7], null, s9, v73, v[6:7]
	v_add_co_u32 v0, s0, v8, v0
	s_wait_alu 0xf1ff
	s_delay_alu instid0(VALU_DEP_3) | instskip(NEXT) | instid1(VALU_DEP_3)
	v_add_co_ci_u32_e64 v1, s0, v23, v1, s0
	v_dual_mov_b32 v7, v14 :: v_dual_mov_b32 v12, v6
	v_lshlrev_b64_e32 v[2:3], 3, v[2:3]
	s_delay_alu instid0(VALU_DEP_2) | instskip(NEXT) | instid1(VALU_DEP_3)
	v_mad_co_u64_u32 v[19:20], null, s9, v19, v[7:8]
	v_lshlrev_b64_e32 v[11:12], 3, v[11:12]
	v_mad_co_u64_u32 v[20:21], null, s8, v22, 0
	s_delay_alu instid0(VALU_DEP_4)
	v_add_co_u32 v2, s0, v8, v2
	s_wait_alu 0xf1ff
	v_add_co_ci_u32_e64 v3, s0, v23, v3, s0
	v_add_co_u32 v15, s0, v8, v4
	s_wait_alu 0xf1ff
	v_add_co_ci_u32_e64 v16, s0, v23, v5, s0
	v_lshlrev_b64_e32 v[4:5], 3, v[9:10]
	v_mad_co_u64_u32 v[9:10], null, s8, v41, 0
	s_delay_alu instid0(VALU_DEP_2) | instskip(SKIP_1) | instid1(VALU_DEP_3)
	v_add_co_u32 v17, s0, v8, v4
	s_wait_alu 0xf1ff
	v_add_co_ci_u32_e64 v18, s0, v23, v5, s0
	s_clause 0x3
	global_load_b64 v[0:1], v[0:1], off
	global_load_b64 v[4:5], v[2:3], off
	;; [unrolled: 1-line block ×4, first 2 shown]
	v_mad_co_u64_u32 v[15:16], null, s9, v41, v[10:11]
	v_mov_b32_e32 v16, v21
	v_add_co_u32 v11, s0, v8, v11
	s_wait_alu 0xf1ff
	v_add_co_ci_u32_e64 v12, s0, v23, v12, s0
	s_delay_alu instid0(VALU_DEP_4) | instskip(SKIP_2) | instid1(VALU_DEP_2)
	v_mov_b32_e32 v10, v15
	v_mad_co_u64_u32 v[15:16], null, s9, v22, v[16:17]
	v_mad_co_u64_u32 v[17:18], null, s8, v40, 0
	v_dual_mov_b32 v14, v19 :: v_dual_mov_b32 v21, v15
	s_delay_alu instid0(VALU_DEP_1) | instskip(NEXT) | instid1(VALU_DEP_3)
	v_lshlrev_b64_e32 v[13:14], 3, v[13:14]
	v_mov_b32_e32 v15, v18
	v_lshlrev_b64_e32 v[9:10], 3, v[9:10]
	s_delay_alu instid0(VALU_DEP_4)
	v_lshlrev_b64_e32 v[18:19], 3, v[20:21]
	v_mad_co_u64_u32 v[20:21], null, s8, v42, 0
	v_add_nc_u32_e32 v22, 0x284, v72
	v_add_co_u32 v13, s0, v8, v13
	s_wait_alu 0xf1ff
	v_add_co_ci_u32_e64 v14, s0, v23, v14, s0
	s_delay_alu instid0(VALU_DEP_3) | instskip(SKIP_4) | instid1(VALU_DEP_4)
	v_mad_co_u64_u32 v[24:25], null, s8, v22, 0
	v_mad_co_u64_u32 v[15:16], null, s9, v40, v[15:16]
	v_add_co_u32 v9, s0, v8, v9
	s_wait_alu 0xf1ff
	v_add_co_ci_u32_e64 v10, s0, v23, v10, s0
	v_mov_b32_e32 v16, v25
	v_add_co_u32 v25, s0, v8, v18
	s_wait_alu 0xf1ff
	v_add_co_ci_u32_e64 v26, s0, v23, v19, s0
	v_mov_b32_e32 v19, v21
	v_mad_co_u64_u32 v[30:31], null, s9, v22, v[16:17]
	v_mad_co_u64_u32 v[31:32], null, s8, v33, 0
	v_mov_b32_e32 v18, v15
	s_clause 0x3
	global_load_b64 v[11:12], v[11:12], off
	global_load_b64 v[15:16], v[13:14], off
	;; [unrolled: 1-line block ×4, first 2 shown]
	v_mad_co_u64_u32 v[21:22], null, s9, v42, v[19:20]
	v_mov_b32_e32 v25, v30
	v_mad_co_u64_u32 v[26:27], null, s8, v43, 0
	v_dual_mov_b32 v19, v32 :: v_dual_add_nc_u32 v22, 0x2f4, v72
	v_lshlrev_b64_e32 v[17:18], 3, v[17:18]
	s_delay_alu instid0(VALU_DEP_4) | instskip(NEXT) | instid1(VALU_DEP_3)
	v_lshlrev_b64_e32 v[24:25], 3, v[24:25]
	v_mad_co_u64_u32 v[32:33], null, s9, v33, v[19:20]
	s_delay_alu instid0(VALU_DEP_4) | instskip(SKIP_4) | instid1(VALU_DEP_3)
	v_mad_co_u64_u32 v[33:34], null, s8, v22, 0
	v_mov_b32_e32 v19, v27
	v_add_co_u32 v17, s0, v8, v17
	s_wait_alu 0xf1ff
	v_add_co_ci_u32_e64 v18, s0, v23, v18, s0
	v_mad_co_u64_u32 v[35:36], null, s9, v43, v[19:20]
	v_lshlrev_b64_e32 v[20:21], 3, v[20:21]
	v_mov_b32_e32 v19, v34
	v_add_co_u32 v24, s0, v8, v24
	v_lshlrev_b64_e32 v[30:31], 3, v[31:32]
	s_wait_alu 0xf1ff
	v_add_co_ci_u32_e64 v25, s0, v23, v25, s0
	v_mad_co_u64_u32 v[36:37], null, s9, v22, v[19:20]
	v_mov_b32_e32 v27, v35
	v_add_co_u32 v37, s0, v8, v20
	s_wait_alu 0xf1ff
	v_add_co_ci_u32_e64 v38, s0, v23, v21, s0
	s_delay_alu instid0(VALU_DEP_3) | instskip(SKIP_4) | instid1(VALU_DEP_3)
	v_lshlrev_b64_e32 v[19:20], 3, v[26:27]
	v_mov_b32_e32 v34, v36
	v_add_co_u32 v26, s0, v8, v30
	s_wait_alu 0xf1ff
	v_add_co_ci_u32_e64 v27, s0, v23, v31, s0
	v_lshlrev_b64_e32 v[21:22], 3, v[33:34]
	v_add_co_u32 v35, s0, v8, v19
	s_wait_alu 0xf1ff
	v_add_co_ci_u32_e64 v36, s0, v23, v20, s0
	s_delay_alu instid0(VALU_DEP_3)
	v_add_co_u32 v44, s0, v8, v21
	s_wait_alu 0xf1ff
	v_add_co_ci_u32_e64 v45, s0, v23, v22, s0
	s_clause 0x5
	global_load_b64 v[19:20], v[17:18], off
	global_load_b64 v[30:31], v[24:25], off
	;; [unrolled: 1-line block ×6, first 2 shown]
	v_dual_mov_b32 v18, 0 :: v_dual_mov_b32 v17, 0
                                        ; implicit-def: $vgpr37
	v_cmpx_gt_u32_e32 28, v72
	s_cbranch_execz .LBB0_14
; %bb.13:
	v_add_nc_u32_e32 v32, 0x188, v72
	s_delay_alu instid0(VALU_DEP_1) | instskip(SKIP_1) | instid1(VALU_DEP_1)
	v_mad_co_u64_u32 v[17:18], null, s8, v32, 0
	s_wait_loadcnt 0x5
	v_mad_co_u64_u32 v[37:38], null, s9, v32, v[18:19]
	s_delay_alu instid0(VALU_DEP_1) | instskip(NEXT) | instid1(VALU_DEP_1)
	v_dual_mov_b32 v18, v37 :: v_dual_add_nc_u32 v39, 0x32c, v72
	v_mad_co_u64_u32 v[26:27], null, s8, v39, 0
	s_delay_alu instid0(VALU_DEP_2) | instskip(NEXT) | instid1(VALU_DEP_2)
	v_lshlrev_b64_e32 v[17:18], 3, v[17:18]
	v_mad_co_u64_u32 v[38:39], null, s9, v39, v[27:28]
	s_delay_alu instid0(VALU_DEP_2) | instskip(SKIP_1) | instid1(VALU_DEP_3)
	v_add_co_u32 v17, s0, v8, v17
	s_wait_alu 0xf1ff
	v_add_co_ci_u32_e64 v18, s0, v23, v18, s0
	s_delay_alu instid0(VALU_DEP_3) | instskip(NEXT) | instid1(VALU_DEP_1)
	v_mov_b32_e32 v27, v38
	v_lshlrev_b64_e32 v[26:27], 3, v[26:27]
	s_delay_alu instid0(VALU_DEP_1) | instskip(SKIP_1) | instid1(VALU_DEP_2)
	v_add_co_u32 v26, s0, v8, v26
	s_wait_alu 0xf1ff
	v_add_co_ci_u32_e64 v27, s0, v23, v27, s0
	s_clause 0x1
	global_load_b64 v[17:18], v[17:18], off
	global_load_b64 v[37:38], v[26:27], off
.LBB0_14:
	s_wait_alu 0xfffe
	s_or_b32 exec_lo, exec_lo, s2
	v_mov_b32_e32 v39, v64
.LBB0_15:
	s_or_b32 exec_lo, exec_lo, s1
	s_wait_loadcnt 0xc
	v_sub_f32_e32 v27, v0, v4
	s_wait_loadcnt 0xa
	v_sub_f32_e32 v45, v2, v6
	;; [unrolled: 2-line block ×5, first 2 shown]
	v_fma_f32 v26, v0, 2.0, -v27
	v_fma_f32 v44, v2, 2.0, -v45
	v_add_nc_u32_e32 v2, 0x188, v72
	v_fma_f32 v46, v11, 2.0, -v47
	v_fma_f32 v48, v9, 2.0, -v49
	s_wait_loadcnt 0x0
	v_sub_f32_e32 v9, v17, v37
	v_lshl_add_u32 v11, v72, 3, 0
	v_lshl_add_u32 v13, v39, 3, 0
	v_sub_f32_e32 v33, v21, v33
	v_lshl_add_u32 v15, v73, 3, 0
	v_sub_f32_e32 v53, v24, v35
	v_fma_f32 v8, v17, 2.0, -v9
	ds_store_b64 v11, v[26:27]
	ds_store_b64 v13, v[44:45]
	;; [unrolled: 1-line block ×3, first 2 shown]
	v_lshl_add_u32 v17, v41, 3, 0
	v_lshl_add_u32 v30, v40, 3, 0
	;; [unrolled: 1-line block ×4, first 2 shown]
	v_cmp_gt_u32_e64 s0, 28, v72
	v_lshl_add_u32 v44, v2, 3, 0
	v_fma_f32 v50, v19, 2.0, -v51
	v_fma_f32 v32, v21, 2.0, -v33
	;; [unrolled: 1-line block ×3, first 2 shown]
	ds_store_b64 v17, v[48:49]
	ds_store_b64 v30, v[50:51]
	;; [unrolled: 1-line block ×4, first 2 shown]
	s_and_saveexec_b32 s1, s0
	s_cbranch_execz .LBB0_17
; %bb.16:
	ds_store_b64 v44, v[8:9]
.LBB0_17:
	s_wait_alu 0xfffe
	s_or_b32 exec_lo, exec_lo, s1
	v_lshlrev_b32_e32 v0, 2, v72
	v_lshlrev_b32_e32 v45, 2, v73
	;; [unrolled: 1-line block ×5, first 2 shown]
	v_sub_nc_u32_e32 v19, v11, v0
	v_lshlrev_b32_e32 v0, 2, v39
	v_lshlrev_b32_e32 v56, 2, v43
	v_sub_nc_u32_e32 v48, v15, v45
	v_sub_nc_u32_e32 v49, v17, v46
	v_add_nc_u32_e32 v21, 0x800, v19
	v_add_nc_u32_e32 v6, 0x400, v19
	v_sub_nc_u32_e32 v50, v30, v52
	v_sub_nc_u32_e32 v51, v37, v55
	v_sub_nc_u32_e32 v47, v13, v0
	v_sub_nc_u32_e32 v53, v35, v56
	global_wb scope:SCOPE_SE
	s_wait_dscnt 0x0
	s_barrier_signal -1
	s_barrier_wait -1
	global_inv scope:SCOPE_SE
	ds_load_b32 v4, v19
	ds_load_2addr_b32 v[32:33], v6 offset0:164 offset1:220
	ds_load_2addr_b32 v[23:24], v21 offset0:20 offset1:76
	;; [unrolled: 1-line block ×3, first 2 shown]
	ds_load_b32 v6, v48
	ds_load_b32 v21, v49
	;; [unrolled: 1-line block ×6, first 2 shown]
	ds_load_b32 v47, v19 offset:3024
	s_and_saveexec_b32 s1, s0
	s_cbranch_execz .LBB0_19
; %bb.18:
	ds_load_b32 v8, v19 offset:1568
	ds_load_b32 v9, v19 offset:3248
.LBB0_19:
	s_wait_alu 0xfffe
	s_or_b32 exec_lo, exec_lo, s1
	v_dual_sub_f32 v57, v1, v5 :: v_dual_sub_f32 v66, v20, v31
	v_sub_nc_u32_e32 v5, 0, v56
	v_dual_sub_f32 v59, v3, v7 :: v_dual_sub_f32 v68, v22, v34
	s_delay_alu instid0(VALU_DEP_3)
	v_fma_f32 v56, v1, 2.0, -v57
	v_sub_f32_e32 v1, v18, v38
	v_sub_f32_e32 v61, v12, v16
	v_dual_sub_f32 v63, v10, v14 :: v_dual_sub_f32 v70, v25, v36
	v_sub_nc_u32_e32 v53, 0, v0
	v_sub_nc_u32_e32 v54, 0, v45
	;; [unrolled: 1-line block ×5, first 2 shown]
	v_fma_f32 v0, v18, 2.0, -v1
	v_fma_f32 v58, v3, 2.0, -v59
	;; [unrolled: 1-line block ×7, first 2 shown]
	global_wb scope:SCOPE_SE
	s_wait_dscnt 0x0
	s_barrier_signal -1
	s_barrier_wait -1
	global_inv scope:SCOPE_SE
	ds_store_b64 v11, v[56:57]
	ds_store_b64 v13, v[58:59]
	;; [unrolled: 1-line block ×7, first 2 shown]
	s_and_saveexec_b32 s1, s0
	s_cbranch_execz .LBB0_21
; %bb.20:
	ds_store_b64 v44, v[0:1]
.LBB0_21:
	s_wait_alu 0xfffe
	s_or_b32 exec_lo, exec_lo, s1
	v_add_nc_u32_e32 v14, 0x800, v19
	v_add_nc_u32_e32 v18, v15, v54
	;; [unrolled: 1-line block ×7, first 2 shown]
	global_wb scope:SCOPE_SE
	s_wait_dscnt 0x0
	s_barrier_signal -1
	s_barrier_wait -1
	global_inv scope:SCOPE_SE
	ds_load_b32 v52, v19
	ds_load_2addr_b32 v[10:11], v3 offset0:164 offset1:220
	v_add_nc_u32_e32 v20, v13, v53
	ds_load_2addr_b32 v[12:13], v14 offset0:20 offset1:76
	ds_load_2addr_b32 v[14:15], v14 offset0:132 offset1:188
	ds_load_b32 v58, v18
	ds_load_b32 v53, v22
	;; [unrolled: 1-line block ×6, first 2 shown]
	ds_load_b32 v63, v19 offset:3024
	v_lshlrev_b32_e32 v46, 1, v72
	v_lshlrev_b32_e32 v45, 1, v39
	;; [unrolled: 1-line block ×7, first 2 shown]
	s_and_saveexec_b32 s1, s0
	s_cbranch_execz .LBB0_23
; %bb.22:
	ds_load_b32 v0, v19 offset:1568
	ds_load_b32 v1, v19 offset:3248
.LBB0_23:
	s_wait_alu 0xfffe
	s_or_b32 exec_lo, exec_lo, s1
	v_and_b32_e32 v57, 1, v72
	s_delay_alu instid0(VALU_DEP_1)
	v_lshlrev_b32_e32 v3, 3, v57
	global_load_b64 v[16:17], v3, s[4:5]
	v_lshlrev_b32_e32 v34, 1, v2
	v_and_or_b32 v2, 0x7c, v46, v57
	global_wb scope:SCOPE_SE
	s_wait_loadcnt_dscnt 0x0
	s_barrier_signal -1
	s_barrier_wait -1
	global_inv scope:SCOPE_SE
	v_lshl_add_u32 v66, v2, 2, 0
	v_mul_f32_e32 v2, v10, v17
	v_and_or_b32 v3, 0xfc, v45, v57
	v_and_or_b32 v42, 0x3fc, v37, v57
	;; [unrolled: 1-line block ×5, first 2 shown]
	v_lshl_add_u32 v67, v3, 2, 0
	v_mul_f32_e32 v3, v11, v17
	v_lshl_add_u32 v70, v42, 2, 0
	v_and_or_b32 v59, 0x3fc, v35, v57
	v_lshl_add_u32 v68, v5, 2, 0
	v_mul_f32_e32 v5, v12, v17
	v_fma_f32 v3, v33, v16, -v3
	v_mul_f32_e32 v42, v14, v17
	v_lshl_add_u32 v69, v7, 2, 0
	v_lshl_add_u32 v71, v43, 2, 0
	;; [unrolled: 1-line block ×3, first 2 shown]
	v_sub_f32_e32 v3, v51, v3
	v_fma_f32 v42, v26, v16, -v42
	v_mul_f32_e32 v60, v1, v17
	v_mul_f32_e32 v43, v15, v17
	;; [unrolled: 1-line block ×3, first 2 shown]
	v_fma_f32 v2, v32, v16, -v2
	v_sub_f32_e32 v61, v48, v42
	v_fma_f32 v60, v9, v16, -v60
	v_mul_f32_e32 v7, v13, v17
	v_fma_f32 v5, v23, v16, -v5
	v_fma_f32 v43, v27, v16, -v43
	;; [unrolled: 1-line block ×3, first 2 shown]
	v_sub_f32_e32 v42, v8, v60
	v_fma_f32 v7, v24, v16, -v7
	v_dual_sub_f32 v2, v4, v2 :: v_dual_sub_f32 v5, v6, v5
	v_sub_f32_e32 v65, v49, v43
	v_sub_f32_e32 v59, v50, v59
	s_delay_alu instid0(VALU_DEP_4) | instskip(NEXT) | instid1(VALU_DEP_4)
	v_sub_f32_e32 v7, v21, v7
	v_fma_f32 v4, v4, 2.0, -v2
	v_fma_f32 v43, v8, 2.0, -v42
	;; [unrolled: 1-line block ×8, first 2 shown]
	ds_store_2addr_b32 v66, v4, v2 offset1:2
	ds_store_2addr_b32 v67, v51, v3 offset1:2
	;; [unrolled: 1-line block ×7, first 2 shown]
	s_and_saveexec_b32 s1, s0
	s_cbranch_execz .LBB0_25
; %bb.24:
	v_and_or_b32 v2, 0x37c, v34, v57
	s_delay_alu instid0(VALU_DEP_1)
	v_lshl_add_u32 v2, v2, 2, 0
	ds_store_2addr_b32 v2, v43, v42 offset1:2
.LBB0_25:
	s_wait_alu 0xfffe
	s_or_b32 exec_lo, exec_lo, s1
	v_add_nc_u32_e32 v2, 0x400, v19
	v_add_nc_u32_e32 v3, 0x800, v19
	global_wb scope:SCOPE_SE
	s_wait_dscnt 0x0
	s_barrier_signal -1
	s_barrier_wait -1
	global_inv scope:SCOPE_SE
	ds_load_b32 v49, v19
	ds_load_2addr_b32 v[6:7], v2 offset0:164 offset1:220
	ds_load_2addr_b32 v[4:5], v3 offset0:20 offset1:76
	;; [unrolled: 1-line block ×3, first 2 shown]
	ds_load_b32 v50, v18
	ds_load_b32 v51, v22
	;; [unrolled: 1-line block ×6, first 2 shown]
	ds_load_b32 v48, v19 offset:3024
	v_lshl_add_u32 v21, v72, 2, 0
	s_and_saveexec_b32 s1, s0
	s_cbranch_execz .LBB0_27
; %bb.26:
	ds_load_b32 v43, v21 offset:1568
	ds_load_b32 v42, v19 offset:3248
.LBB0_27:
	s_wait_alu 0xfffe
	s_or_b32 exec_lo, exec_lo, s1
	v_mul_f32_e32 v23, v23, v17
	v_mul_f32_e32 v26, v26, v17
	global_wb scope:SCOPE_SE
	s_wait_dscnt 0x0
	s_barrier_signal -1
	s_barrier_wait -1
	v_fmac_f32_e32 v23, v12, v16
	v_mul_f32_e32 v8, v32, v17
	v_mul_f32_e32 v32, v33, v17
	global_inv scope:SCOPE_SE
	v_mul_f32_e32 v9, v9, v17
	v_mul_f32_e32 v24, v24, v17
	v_fmac_f32_e32 v32, v11, v16
	v_mul_f32_e32 v11, v47, v17
	s_delay_alu instid0(VALU_DEP_4) | instskip(NEXT) | instid1(VALU_DEP_4)
	v_fmac_f32_e32 v9, v1, v16
	v_dual_fmac_f32 v24, v13, v16 :: v_dual_sub_f32 v13, v58, v23
	v_fmac_f32_e32 v8, v10, v16
	v_mul_f32_e32 v10, v27, v17
	v_sub_f32_e32 v12, v62, v32
	s_delay_alu instid0(VALU_DEP_4)
	v_sub_f32_e32 v23, v53, v24
	v_fmac_f32_e32 v11, v63, v16
	v_fmac_f32_e32 v26, v14, v16
	;; [unrolled: 1-line block ×3, first 2 shown]
	v_sub_f32_e32 v8, v52, v8
	v_sub_f32_e32 v14, v0, v9
	s_delay_alu instid0(VALU_DEP_4) | instskip(NEXT) | instid1(VALU_DEP_4)
	v_dual_sub_f32 v11, v56, v11 :: v_dual_sub_f32 v24, v54, v26
	v_sub_f32_e32 v10, v55, v10
	s_delay_alu instid0(VALU_DEP_4) | instskip(NEXT) | instid1(VALU_DEP_4)
	v_fma_f32 v1, v52, 2.0, -v8
	v_fma_f32 v17, v0, 2.0, -v14
	;; [unrolled: 1-line block ×8, first 2 shown]
	ds_store_2addr_b32 v66, v1, v8 offset1:2
	ds_store_2addr_b32 v67, v15, v12 offset1:2
	;; [unrolled: 1-line block ×7, first 2 shown]
	s_and_saveexec_b32 s1, s0
	s_cbranch_execz .LBB0_29
; %bb.28:
	v_and_or_b32 v0, 0x37c, v34, v57
	s_delay_alu instid0(VALU_DEP_1)
	v_lshl_add_u32 v0, v0, 2, 0
	ds_store_2addr_b32 v0, v17, v14 offset1:2
.LBB0_29:
	s_wait_alu 0xfffe
	s_or_b32 exec_lo, exec_lo, s1
	v_add_nc_u32_e32 v0, 0x400, v19
	v_add_nc_u32_e32 v1, 0x800, v19
	global_wb scope:SCOPE_SE
	s_wait_dscnt 0x0
	s_barrier_signal -1
	s_barrier_wait -1
	global_inv scope:SCOPE_SE
	ds_load_b32 v15, v19
	ds_load_2addr_b32 v[10:11], v0 offset0:164 offset1:220
	ds_load_2addr_b32 v[8:9], v1 offset0:20 offset1:76
	;; [unrolled: 1-line block ×3, first 2 shown]
	ds_load_b32 v26, v18
	ds_load_b32 v27, v22
	;; [unrolled: 1-line block ×6, first 2 shown]
	ds_load_b32 v52, v19 offset:3024
	s_and_saveexec_b32 s1, s0
	s_cbranch_execz .LBB0_31
; %bb.30:
	ds_load_b32 v17, v21 offset:1568
	ds_load_b32 v14, v19 offset:3248
.LBB0_31:
	s_wait_alu 0xfffe
	s_or_b32 exec_lo, exec_lo, s1
	v_and_b32_e32 v23, 3, v72
	s_delay_alu instid0(VALU_DEP_1)
	v_lshlrev_b32_e32 v12, 3, v23
	v_and_or_b32 v24, 0x78, v46, v23
	v_and_or_b32 v54, 0x3f8, v35, v23
	global_load_b64 v[12:13], v12, s[4:5] offset:16
	v_lshl_add_u32 v35, v24, 2, 0
	global_wb scope:SCOPE_SE
	s_wait_loadcnt_dscnt 0x0
	s_barrier_signal -1
	s_barrier_wait -1
	global_inv scope:SCOPE_SE
	v_mul_f32_e32 v24, v10, v13
	v_and_or_b32 v44, 0x1f8, v44, v23
	v_and_or_b32 v46, 0x3f8, v37, v23
	;; [unrolled: 1-line block ×4, first 2 shown]
	v_fma_f32 v24, v6, v12, -v24
	v_lshl_add_u32 v37, v44, 2, 0
	v_lshl_add_u32 v44, v46, 2, 0
	;; [unrolled: 1-line block ×3, first 2 shown]
	s_delay_alu instid0(VALU_DEP_4) | instskip(SKIP_3) | instid1(VALU_DEP_4)
	v_dual_mul_f32 v54, v8, v13 :: v_dual_sub_f32 v63, v49, v24
	v_lshl_add_u32 v36, v45, 2, 0
	v_lshl_add_u32 v45, v53, 2, 0
	v_mul_f32_e32 v53, v11, v13
	v_fma_f32 v54, v4, v12, -v54
	v_mul_f32_e32 v55, v9, v13
	v_mul_f32_e32 v58, v52, v13
	;; [unrolled: 1-line block ×3, first 2 shown]
	v_fma_f32 v53, v7, v12, -v53
	v_sub_f32_e32 v54, v50, v54
	v_fma_f32 v55, v5, v12, -v55
	v_mul_f32_e32 v56, v0, v13
	v_and_or_b32 v38, 0x1f8, v38, v23
	v_fma_f32 v58, v48, v12, -v58
	v_fma_f32 v62, v42, v12, -v62
	v_sub_f32_e32 v55, v51, v55
	v_fma_f32 v56, v2, v12, -v56
	v_mul_f32_e32 v57, v1, v13
	s_delay_alu instid0(VALU_DEP_4) | instskip(SKIP_1) | instid1(VALU_DEP_4)
	v_dual_sub_f32 v53, v65, v53 :: v_dual_sub_f32 v24, v43, v62
	v_lshl_add_u32 v38, v38, 2, 0
	v_sub_f32_e32 v56, v59, v56
	s_delay_alu instid0(VALU_DEP_4)
	v_fma_f32 v57, v3, v12, -v57
	v_sub_f32_e32 v58, v61, v58
	v_fma_f32 v49, v49, 2.0, -v63
	v_fma_f32 v62, v65, 2.0, -v53
	;; [unrolled: 1-line block ×3, first 2 shown]
	v_sub_f32_e32 v57, v60, v57
	v_fma_f32 v51, v51, 2.0, -v55
	v_fma_f32 v59, v59, 2.0, -v56
	;; [unrolled: 1-line block ×3, first 2 shown]
	s_delay_alu instid0(VALU_DEP_4)
	v_fma_f32 v60, v60, 2.0, -v57
	ds_store_2addr_b32 v35, v49, v63 offset1:4
	ds_store_2addr_b32 v36, v62, v53 offset1:4
	;; [unrolled: 1-line block ×7, first 2 shown]
	s_and_saveexec_b32 s1, s0
	s_cbranch_execz .LBB0_33
; %bb.32:
	v_and_or_b32 v49, 0x378, v34, v23
	v_fma_f32 v43, v43, 2.0, -v24
	s_delay_alu instid0(VALU_DEP_2)
	v_lshl_add_u32 v49, v49, 2, 0
	ds_store_2addr_b32 v49, v43, v24 offset1:4
.LBB0_33:
	s_wait_alu 0xfffe
	s_or_b32 exec_lo, exec_lo, s1
	v_mul_f32_e32 v7, v7, v13
	v_mul_f32_e32 v6, v6, v13
	;; [unrolled: 1-line block ×4, first 2 shown]
	global_wb scope:SCOPE_SE
	s_wait_dscnt 0x0
	v_fmac_f32_e32 v7, v11, v12
	v_fmac_f32_e32 v6, v10, v12
	v_dual_fmac_f32 v5, v9, v12 :: v_dual_mul_f32 v2, v2, v13
	v_dual_fmac_f32 v4, v8, v12 :: v_dual_mul_f32 v43, v3, v13
	s_delay_alu instid0(VALU_DEP_3) | instskip(NEXT) | instid1(VALU_DEP_3)
	v_dual_sub_f32 v49, v15, v6 :: v_dual_mul_f32 v48, v48, v13
	v_fmac_f32_e32 v2, v0, v12
	v_mul_f32_e32 v42, v42, v13
	s_delay_alu instid0(VALU_DEP_4) | instskip(SKIP_3) | instid1(VALU_DEP_4)
	v_dual_sub_f32 v50, v16, v7 :: v_dual_sub_f32 v53, v26, v4
	v_dual_fmac_f32 v43, v1, v12 :: v_dual_add_nc_u32 v8, 0x800, v19
	v_dual_fmac_f32 v48, v52, v12 :: v_dual_add_nc_u32 v9, 0x400, v19
	v_fma_f32 v51, v15, 2.0, -v49
	v_fma_f32 v52, v16, 2.0, -v50
	v_dual_sub_f32 v54, v27, v5 :: v_dual_sub_f32 v55, v32, v2
	v_dual_fmac_f32 v42, v14, v12 :: v_dual_sub_f32 v43, v33, v43
	s_barrier_signal -1
	s_barrier_wait -1
	global_inv scope:SCOPE_SE
	ds_load_b32 v10, v19
	ds_load_2addr_b32 v[6:7], v8 offset0:48 offset1:104
	ds_load_2addr_b32 v[4:5], v9 offset0:80 offset1:136
	;; [unrolled: 1-line block ×3, first 2 shown]
	ds_load_b32 v12, v18
	ds_load_b32 v11, v22
	ds_load_2addr_b32 v[2:3], v9 offset0:192 offset1:248
	ds_load_b32 v16, v31
	ds_load_b32 v13, v30
	;; [unrolled: 1-line block ×3, first 2 shown]
	ds_load_b32 v15, v19 offset:3136
	v_sub_f32_e32 v48, v47, v48
	v_fma_f32 v56, v26, 2.0, -v53
	v_sub_f32_e32 v26, v17, v42
	v_fma_f32 v27, v27, 2.0, -v54
	v_fma_f32 v32, v32, 2.0, -v55
	v_fma_f32 v33, v33, 2.0, -v43
	v_fma_f32 v47, v47, 2.0, -v48
	global_wb scope:SCOPE_SE
	s_wait_dscnt 0x0
	s_barrier_signal -1
	s_barrier_wait -1
	global_inv scope:SCOPE_SE
	ds_store_2addr_b32 v35, v51, v49 offset1:4
	ds_store_2addr_b32 v36, v52, v50 offset1:4
	;; [unrolled: 1-line block ×7, first 2 shown]
	s_and_saveexec_b32 s1, s0
	s_cbranch_execz .LBB0_35
; %bb.34:
	v_and_or_b32 v23, 0x378, v34, v23
	v_fma_f32 v17, v17, 2.0, -v26
	s_delay_alu instid0(VALU_DEP_2)
	v_lshl_add_u32 v23, v23, 2, 0
	ds_store_2addr_b32 v23, v17, v26 offset1:4
.LBB0_35:
	s_wait_alu 0xfffe
	s_or_b32 exec_lo, exec_lo, s1
	v_and_b32_e32 v17, 7, v72
	global_wb scope:SCOPE_SE
	s_wait_dscnt 0x0
	s_barrier_signal -1
	s_barrier_wait -1
	global_inv scope:SCOPE_SE
	v_lshlrev_b32_e32 v23, 4, v17
	v_lshrrev_b32_e32 v51, 3, v39
	v_lshrrev_b32_e32 v52, 3, v73
	;; [unrolled: 1-line block ×4, first 2 shown]
	global_load_b128 v[32:35], v23, s[4:5] offset:48
	ds_load_b32 v23, v19
	ds_load_2addr_b32 v[36:37], v8 offset0:48 offset1:104
	ds_load_2addr_b32 v[42:43], v9 offset0:80 offset1:136
	;; [unrolled: 1-line block ×3, first 2 shown]
	ds_load_b32 v27, v18
	ds_load_b32 v38, v22
	ds_load_2addr_b32 v[46:47], v9 offset0:192 offset1:248
	ds_load_b32 v31, v31
	ds_load_b32 v30, v30
	;; [unrolled: 1-line block ×3, first 2 shown]
	ds_load_b32 v49, v19 offset:3136
	v_and_b32_e32 v53, 0xff, v72
	v_and_b32_e32 v54, 0xff, v39
	v_lshrrev_b32_e32 v50, 3, v72
	v_mul_lo_u32 v51, v51, 24
	v_mul_lo_u32 v52, v52, 24
	v_mul_lo_u32 v41, v41, 24
	v_mul_lo_u32 v40, v40, 24
	v_mul_u32_u24_e32 v50, 24, v50
	v_and_b32_e32 v55, 0xff, v73
	global_wb scope:SCOPE_SE
	s_wait_loadcnt_dscnt 0x0
	s_barrier_signal -1
	s_barrier_wait -1
	global_inv scope:SCOPE_SE
	v_cmp_gt_u32_e64 s0, 8, v72
	v_mul_f32_e32 v70, v44, v35
	v_mul_f32_e32 v66, v37, v35
	v_mul_lo_u16 v53, 0xab, v53
	v_mul_f32_e32 v59, v31, v33
	v_mul_lo_u16 v54, 0xab, v54
	v_mul_f32_e32 v60, v16, v33
	v_or_b32_e32 v50, v50, v17
	v_lshrrev_b16 v53, 12, v53
	v_or_b32_e32 v51, v51, v17
	v_lshrrev_b16 v54, 12, v54
	v_or_b32_e32 v52, v52, v17
	v_or_b32_e32 v41, v41, v17
	v_mul_lo_u16 v56, v53, 24
	v_or_b32_e32 v17, v40, v17
	v_mul_lo_u16 v40, v54, 24
	v_mul_f32_e32 v62, v6, v35
	v_dual_mul_f32 v67, v7, v35 :: v_dual_mul_f32 v74, v46, v33
	v_sub_nc_u16 v56, v72, v56
	s_delay_alu instid0(VALU_DEP_4)
	v_sub_nc_u16 v40, v39, v40
	v_mul_f32_e32 v61, v36, v35
	v_mul_f32_e32 v63, v42, v33
	v_dual_mul_f32 v68, v43, v33 :: v_dual_mul_f32 v71, v0, v35
	v_and_b32_e32 v56, 0xff, v56
	v_dual_mul_f32 v65, v4, v33 :: v_dual_and_b32 v58, 0xff, v40
	v_dual_mul_f32 v69, v5, v33 :: v_dual_fmac_f32 v60, v31, v32
	s_delay_alu instid0(VALU_DEP_3)
	v_dual_mul_f32 v75, v2, v33 :: v_dual_lshlrev_b32 v40, 5, v56
	v_mul_f32_e32 v76, v45, v35
	v_dual_mul_f32 v77, v1, v35 :: v_dual_mul_f32 v78, v47, v33
	v_dual_mul_f32 v33, v3, v33 :: v_dual_fmac_f32 v62, v36, v34
	v_fma_f32 v16, v16, v32, -v59
	v_fma_f32 v6, v6, v34, -v61
	v_mul_f32_e32 v79, v49, v35
	v_mul_f32_e32 v35, v15, v35
	v_fma_f32 v4, v4, v32, -v63
	v_fmac_f32_e32 v65, v42, v32
	v_fma_f32 v7, v7, v34, -v66
	v_dual_fmac_f32 v67, v37, v34 :: v_dual_add_f32 v36, v23, v60
	v_fma_f32 v5, v5, v32, -v68
	v_fmac_f32_e32 v69, v43, v32
	v_fma_f32 v0, v0, v34, -v70
	v_fmac_f32_e32 v75, v46, v32
	v_fmac_f32_e32 v77, v45, v34
	v_mul_lo_u16 v55, 0xab, v55
	v_dual_fmac_f32 v71, v44, v34 :: v_dual_add_f32 v42, v14, v4
	v_fma_f32 v2, v2, v32, -v74
	v_fma_f32 v1, v1, v34, -v76
	;; [unrolled: 1-line block ×3, first 2 shown]
	v_dual_fmac_f32 v33, v47, v32 :: v_dual_add_f32 v32, v16, v6
	v_fma_f32 v15, v15, v34, -v79
	v_add_f32_e32 v37, v60, v62
	v_add_f32_e32 v43, v4, v7
	v_dual_sub_f32 v4, v4, v7 :: v_dual_add_f32 v31, v10, v16
	v_sub_f32_e32 v16, v16, v6
	v_sub_f32_e32 v44, v65, v67
	v_fmac_f32_e32 v35, v49, v34
	v_sub_f32_e32 v34, v60, v62
	v_add_f32_e32 v60, v27, v69
	v_add_f32_e32 v46, v65, v67
	v_dual_sub_f32 v66, v75, v77 :: v_dual_add_f32 v49, v5, v0
	v_add_f32_e32 v6, v31, v6
	v_lshrrev_b16 v55, 12, v55
	v_dual_add_f32 v45, v48, v65 :: v_dual_add_f32 v70, v13, v3
	v_dual_add_f32 v47, v12, v5 :: v_dual_add_f32 v74, v3, v15
	v_dual_sub_f32 v59, v69, v71 :: v_dual_fmac_f32 v10, -0.5, v32
	v_dual_add_f32 v61, v69, v71 :: v_dual_fmac_f32 v48, -0.5, v46
	s_delay_alu instid0(VALU_DEP_4)
	v_dual_add_f32 v63, v11, v2 :: v_dual_add_f32 v32, v45, v67
	v_add_f32_e32 v65, v2, v1
	v_dual_add_f32 v68, v38, v75 :: v_dual_add_f32 v69, v75, v77
	v_dual_sub_f32 v2, v2, v1 :: v_dual_sub_f32 v75, v33, v35
	v_fmac_f32_e32 v12, -0.5, v49
	v_dual_add_f32 v76, v30, v33 :: v_dual_sub_f32 v5, v5, v0
	v_dual_fmac_f32 v14, -0.5, v43 :: v_dual_add_f32 v31, v36, v62
	v_dual_fmac_f32 v23, -0.5, v37 :: v_dual_add_f32 v36, v60, v71
	v_dual_add_f32 v33, v33, v35 :: v_dual_fmac_f32 v38, -0.5, v69
	v_lshl_add_u32 v50, v50, 2, 0
	v_mul_lo_u16 v57, v55, 24
	s_delay_alu instid0(VALU_DEP_3)
	v_dual_sub_f32 v3, v3, v15 :: v_dual_fmac_f32 v30, -0.5, v33
	v_dual_add_f32 v7, v42, v7 :: v_dual_add_f32 v0, v47, v0
	v_fmac_f32_e32 v27, -0.5, v61
	v_add_f32_e32 v1, v63, v1
	v_fmac_f32_e32 v11, -0.5, v65
	v_add_f32_e32 v37, v68, v77
	v_dual_fmac_f32 v13, -0.5, v74 :: v_dual_add_f32 v42, v76, v35
	v_dual_fmamk_f32 v43, v16, 0xbf5db3d7, v23 :: v_dual_fmamk_f32 v46, v2, 0xbf5db3d7, v38
	v_dual_fmac_f32 v23, 0x3f5db3d7, v16 :: v_dual_fmamk_f32 v16, v44, 0x3f5db3d7, v14
	v_fmac_f32_e32 v14, 0xbf5db3d7, v44
	v_fmamk_f32 v44, v4, 0xbf5db3d7, v48
	v_fmac_f32_e32 v48, 0x3f5db3d7, v4
	v_fmamk_f32 v4, v59, 0x3f5db3d7, v12
	;; [unrolled: 2-line block ×3, first 2 shown]
	v_fmac_f32_e32 v10, 0xbf5db3d7, v34
	v_lshl_add_u32 v51, v51, 2, 0
	v_lshl_add_u32 v52, v52, 2, 0
	;; [unrolled: 1-line block ×4, first 2 shown]
	v_dual_add_f32 v15, v70, v15 :: v_dual_fmac_f32 v38, 0x3f5db3d7, v2
	v_fmamk_f32 v45, v5, 0xbf5db3d7, v27
	v_fmac_f32_e32 v27, 0x3f5db3d7, v5
	v_fmamk_f32 v5, v66, 0x3f5db3d7, v11
	v_fmac_f32_e32 v11, 0xbf5db3d7, v66
	;; [unrolled: 2-line block ×3, first 2 shown]
	ds_store_2addr_b32 v50, v6, v33 offset1:8
	ds_store_b32 v50, v10 offset:64
	ds_store_2addr_b32 v51, v7, v16 offset1:8
	ds_store_b32 v51, v14 offset:64
	;; [unrolled: 2-line block ×5, first 2 shown]
	v_sub_nc_u16 v0, v73, v57
	global_wb scope:SCOPE_SE
	s_wait_dscnt 0x0
	s_barrier_signal -1
	s_barrier_wait -1
	global_inv scope:SCOPE_SE
	ds_load_2addr_b32 v[69:70], v19 offset1:224
	ds_load_b32 v59, v25
	ds_load_2addr_b32 v[34:35], v9 offset0:192 offset1:248
	ds_load_2addr_b32 v[74:75], v8 offset0:160 offset1:216
	;; [unrolled: 1-line block ×4, first 2 shown]
	ds_load_b32 v71, v22
	ds_load_b32 v88, v18
	;; [unrolled: 1-line block ×3, first 2 shown]
	ds_load_b32 v90, v19 offset:3136
	v_lshlrev_b32_e32 v1, 5, v58
	v_and_b32_e32 v0, 0xff, v0
	v_fmamk_f32 v47, v3, 0xbf5db3d7, v30
	v_fmac_f32_e32 v30, 0x3f5db3d7, v3
	global_wb scope:SCOPE_SE
	s_wait_dscnt 0x0
	s_barrier_signal -1
	s_barrier_wait -1
	global_inv scope:SCOPE_SE
	v_lshlrev_b32_e32 v2, 5, v0
	v_lshlrev_b32_e32 v12, 2, v58
	ds_store_2addr_b32 v50, v31, v43 offset1:8
	ds_store_b32 v50, v23 offset:64
	ds_store_2addr_b32 v51, v32, v44 offset1:8
	ds_store_b32 v51, v48 offset:64
	;; [unrolled: 2-line block ×5, first 2 shown]
	global_wb scope:SCOPE_SE
	s_wait_dscnt 0x0
	s_barrier_signal -1
	s_barrier_wait -1
	global_inv scope:SCOPE_SE
	s_clause 0x2
	global_load_b128 v[30:33], v40, s[4:5] offset:176
	global_load_b128 v[44:47], v1, s[4:5] offset:176
	;; [unrolled: 1-line block ×3, first 2 shown]
	s_wait_loadcnt 0x2
	v_mul_f32_e32 v52, v71, v31
	s_wait_loadcnt 0x1
	v_mul_f32_e32 v16, v77, v47
	s_clause 0x2
	global_load_b128 v[48:51], v1, s[4:5] offset:192
	global_load_b128 v[60:63], v2, s[4:5] offset:176
	;; [unrolled: 1-line block ×3, first 2 shown]
	ds_load_b32 v23, v22
	ds_load_b32 v25, v25
	ds_load_2addr_b32 v[84:85], v9 offset0:24 offset1:136
	v_and_b32_e32 v1, 0xffff, v53
	v_and_b32_e32 v7, 0xffff, v55
	ds_load_2addr_b32 v[80:81], v9 offset0:192 offset1:248
	ds_load_2addr_b32 v[82:83], v8 offset0:160 offset1:216
	v_and_b32_e32 v6, 0xffff, v54
	v_add_nc_u32_e32 v2, 0xa0, v19
	v_mul_f32_e32 v54, v59, v33
	s_wait_loadcnt 0x3
	v_dual_mul_f32 v36, v35, v41 :: v_dual_add_nc_u32 v3, 0x80, v19
	v_mul_f32_e32 v37, v74, v43
	v_mul_f32_e32 v15, v70, v45
	s_wait_dscnt 0x4
	v_dual_fmac_f32 v52, v23, v30 :: v_dual_add_nc_u32 v5, 64, v19
	v_mul_f32_e32 v27, v23, v31
	s_wait_dscnt 0x3
	v_mul_f32_e32 v31, v25, v33
	v_fmac_f32_e32 v54, v25, v32
	s_wait_dscnt 0x2
	v_fmac_f32_e32 v16, v85, v46
	s_wait_dscnt 0x1
	v_mul_f32_e32 v33, v81, v41
	v_mul_u32_u24_e32 v6, 0x1e0, v6
	s_wait_dscnt 0x0
	v_mul_f32_e32 v38, v82, v43
	v_fma_f32 v57, v59, v32, -v31
	v_fmac_f32_e32 v36, v81, v40
	v_fma_f32 v58, v35, v40, -v33
	s_delay_alu instid0(VALU_DEP_4) | instskip(NEXT) | instid1(VALU_DEP_3)
	v_fma_f32 v59, v74, v42, -v38
	v_sub_f32_e32 v32, v54, v36
	s_delay_alu instid0(VALU_DEP_2)
	v_sub_f32_e32 v40, v59, v58
	s_wait_loadcnt 0x2
	v_mul_f32_e32 v22, v75, v51
	v_mul_u32_u24_e32 v1, 0x1e0, v1
	s_wait_loadcnt 0x0
	v_mul_f32_e32 v14, v79, v66
	v_mul_u32_u24_e32 v11, 0x1e0, v7
	v_lshlrev_b32_e32 v7, 2, v56
	v_dual_fmac_f32 v22, v83, v50 :: v_dual_lshlrev_b32 v13, 2, v0
	v_mul_f32_e32 v17, v78, v49
	v_fma_f32 v56, v71, v30, -v27
	s_delay_alu instid0(VALU_DEP_4)
	v_add3_u32 v10, 0, v1, v7
	ds_load_2addr_b32 v[0:1], v19 offset1:224
	ds_load_2addr_b32 v[86:87], v8 offset0:48 offset1:104
	ds_load_b32 v8, v18
	ds_load_b32 v9, v20
	ds_load_b32 v91, v19 offset:3136
	v_add_nc_u32_e32 v4, 0x60, v19
	v_add3_u32 v7, 0, v6, v12
	v_dual_mul_f32 v12, v76, v61 :: v_dual_mul_f32 v43, v85, v47
	v_mul_f32_e32 v47, v83, v51
	v_add3_u32 v6, 0, v11, v13
	v_mul_f32_e32 v51, v80, v63
	s_delay_alu instid0(VALU_DEP_4)
	v_fmac_f32_e32 v12, v84, v60
	v_fma_f32 v35, v77, v46, -v43
	v_fma_f32 v55, v75, v50, -v47
	v_add_f32_e32 v30, v57, v58
	global_wb scope:SCOPE_SE
	s_wait_dscnt 0x0
	s_barrier_signal -1
	s_barrier_wait -1
	global_inv scope:SCOPE_SE
	v_fma_f32 v30, -0.5, v30, v69
	v_fmac_f32_e32 v14, v87, v65
	v_mul_f32_e32 v41, v1, v45
	v_mul_f32_e32 v45, v86, v49
	v_mul_f32_e32 v49, v84, v61
	s_delay_alu instid0(VALU_DEP_3)
	v_fma_f32 v53, v70, v44, -v41
	v_mul_f32_e32 v13, v34, v63
	v_mul_f32_e32 v61, v87, v66
	;; [unrolled: 1-line block ×3, first 2 shown]
	v_fma_f32 v38, v78, v48, -v45
	v_add_f32_e32 v50, v53, v55
	v_fmac_f32_e32 v15, v1, v44
	v_fma_f32 v1, v34, v62, -v51
	v_fmac_f32_e32 v17, v86, v48
	v_fma_f32 v34, v90, v67, -v63
	v_sub_f32_e32 v48, v53, v35
	v_fma_f32 v23, v79, v65, -v61
	v_dual_fmac_f32 v37, v82, v42 :: v_dual_sub_f32 v42, v57, v56
	v_fma_f32 v27, v76, v60, -v49
	v_sub_f32_e32 v60, v38, v55
	v_dual_mul_f32 v11, v90, v68 :: v_dual_sub_f32 v46, v15, v22
	s_delay_alu instid0(VALU_DEP_3) | instskip(SKIP_2) | instid1(VALU_DEP_4)
	v_dual_add_f32 v25, v69, v56 :: v_dual_add_f32 v68, v27, v34
	v_dual_add_f32 v44, v89, v53 :: v_dual_fmac_f32 v13, v80, v62
	v_sub_f32_e32 v70, v1, v27
	v_fmac_f32_e32 v11, v91, v67
	v_add_f32_e32 v62, v1, v23
	v_sub_f32_e32 v43, v58, v59
	v_sub_f32_e32 v65, v13, v14
	;; [unrolled: 1-line block ×3, first 2 shown]
	v_add_f32_e32 v41, v56, v59
	v_fma_f32 v74, -0.5, v62, v88
	v_dual_add_f32 v61, v88, v27 :: v_dual_fmac_f32 v88, -0.5, v68
	v_sub_f32_e32 v63, v12, v11
	v_sub_f32_e32 v49, v55, v38
	;; [unrolled: 1-line block ×3, first 2 shown]
	v_dual_sub_f32 v66, v27, v1 :: v_dual_sub_f32 v67, v34, v23
	v_add_f32_e32 v45, v35, v38
	v_fmamk_f32 v62, v63, 0x3f737871, v74
	v_dual_fmac_f32 v74, 0xbf737871, v63 :: v_dual_sub_f32 v33, v56, v57
	v_fmac_f32_e32 v69, -0.5, v41
	v_dual_add_f32 v41, v44, v35 :: v_dual_add_f32 v44, v51, v60
	s_delay_alu instid0(VALU_DEP_3) | instskip(SKIP_4) | instid1(VALU_DEP_3)
	v_dual_add_f32 v33, v33, v40 :: v_dual_add_f32 v40, v42, v43
	v_dual_add_f32 v43, v48, v49 :: v_dual_add_f32 v48, v66, v67
	v_fma_f32 v42, -0.5, v45, v89
	v_dual_fmac_f32 v89, -0.5, v50 :: v_dual_fmamk_f32 v50, v31, 0x3f737871, v30
	v_dual_sub_f32 v47, v16, v17 :: v_dual_fmac_f32 v30, 0xbf737871, v31
	v_dual_fmamk_f32 v60, v46, 0x3f737871, v42 :: v_dual_add_f32 v25, v25, v57
	v_dual_fmac_f32 v42, 0xbf737871, v46 :: v_dual_fmamk_f32 v51, v32, 0xbf737871, v69
	v_fmac_f32_e32 v69, 0x3f737871, v32
	s_delay_alu instid0(VALU_DEP_3)
	v_fmac_f32_e32 v60, 0x3f167918, v47
	v_fmac_f32_e32 v50, 0x3f167918, v32
	v_fmamk_f32 v66, v65, 0xbf737871, v88
	v_fmac_f32_e32 v88, 0x3f737871, v65
	v_add_f32_e32 v45, v61, v1
	v_fmac_f32_e32 v74, 0xbf167918, v65
	v_fmamk_f32 v61, v47, 0xbf737871, v89
	v_fmac_f32_e32 v89, 0x3f737871, v47
	v_dual_fmac_f32 v88, 0xbf167918, v63 :: v_dual_sub_f32 v71, v23, v34
	v_fmac_f32_e32 v30, 0xbf167918, v32
	v_dual_fmac_f32 v42, 0xbf167918, v47 :: v_dual_add_f32 v25, v25, v58
	v_fmac_f32_e32 v51, 0x3f167918, v31
	v_fmac_f32_e32 v69, 0xbf167918, v31
	s_delay_alu instid0(VALU_DEP_4)
	v_fmac_f32_e32 v30, 0x3e9e377a, v33
	v_fmac_f32_e32 v62, 0x3f167918, v65
	v_dual_fmac_f32 v66, 0x3f167918, v63 :: v_dual_add_f32 v41, v41, v38
	v_fmac_f32_e32 v60, 0x3e9e377a, v43
	v_fmac_f32_e32 v61, 0x3f167918, v46
	;; [unrolled: 1-line block ×3, first 2 shown]
	v_dual_add_f32 v49, v70, v71 :: v_dual_fmac_f32 v50, 0x3e9e377a, v33
	v_dual_add_f32 v45, v45, v23 :: v_dual_fmac_f32 v62, 0x3e9e377a, v48
	;; [unrolled: 1-line block ×3, first 2 shown]
	v_dual_fmac_f32 v51, 0x3e9e377a, v40 :: v_dual_fmac_f32 v42, 0x3e9e377a, v43
	s_delay_alu instid0(VALU_DEP_4)
	v_dual_fmac_f32 v69, 0x3e9e377a, v40 :: v_dual_fmac_f32 v88, 0x3e9e377a, v49
	v_dual_add_f32 v31, v41, v55 :: v_dual_fmac_f32 v66, 0x3e9e377a, v49
	v_fmac_f32_e32 v61, 0x3e9e377a, v44
	v_dual_fmac_f32 v89, 0x3e9e377a, v44 :: v_dual_add_f32 v32, v45, v34
	ds_store_2addr_b32 v10, v25, v50 offset1:24
	ds_store_2addr_b32 v10, v51, v69 offset0:48 offset1:72
	ds_store_b32 v10, v30 offset:384
	ds_store_2addr_b32 v7, v31, v60 offset1:24
	ds_store_2addr_b32 v7, v61, v89 offset0:48 offset1:72
	ds_store_b32 v7, v42 offset:384
	ds_store_2addr_b32 v6, v32, v62 offset1:24
	ds_store_2addr_b32 v6, v66, v88 offset0:48 offset1:72
	ds_store_b32 v6, v74 offset:384
	global_wb scope:SCOPE_SE
	s_wait_dscnt 0x0
	s_barrier_signal -1
	s_barrier_wait -1
	global_inv scope:SCOPE_SE
	ds_load_2addr_b32 v[40:41], v19 offset1:120
	ds_load_2addr_b32 v[42:43], v19 offset0:176 offset1:240
	ds_load_2addr_stride64_b32 v[44:45], v2 offset0:4 offset1:5
	ds_load_2addr_stride64_b32 v[48:49], v3 offset0:6 offset1:7
	ds_load_2addr_stride64_b32 v[50:51], v4 offset0:8 offset1:9
	ds_load_2addr_stride64_b32 v[46:47], v5 offset0:10 offset1:11
	ds_load_b32 v78, v20
	ds_load_b32 v79, v19 offset:3104
                                        ; implicit-def: $vgpr33
                                        ; implicit-def: $vgpr31
	s_and_saveexec_b32 s1, s0
	s_cbranch_execz .LBB0_37
; %bb.36:
	v_add_nc_u32_e32 v24, 0x200, v21
	v_add_nc_u32_e32 v30, 0x600, v21
	;; [unrolled: 1-line block ×3, first 2 shown]
	ds_load_b32 v74, v18
	ds_load_2addr_b32 v[24:25], v24 offset0:104 offset1:224
	ds_load_2addr_b32 v[32:33], v30 offset0:88 offset1:208
	;; [unrolled: 1-line block ×3, first 2 shown]
.LBB0_37:
	s_wait_alu 0xfffe
	s_or_b32 exec_lo, exec_lo, s1
	v_dual_add_f32 v60, v54, v36 :: v_dual_sub_f32 v57, v57, v58
	v_add_f32_e32 v62, v52, v37
	v_add_f32_e32 v61, v0, v52
	v_sub_f32_e32 v56, v56, v59
	s_delay_alu instid0(VALU_DEP_4)
	v_fma_f32 v59, -0.5, v60, v0
	global_wb scope:SCOPE_SE
	s_wait_dscnt 0x0
	v_fmac_f32_e32 v0, -0.5, v62
	v_add_f32_e32 v61, v61, v54
	v_sub_f32_e32 v58, v52, v54
	v_sub_f32_e32 v52, v54, v52
	v_dual_fmamk_f32 v54, v56, 0xbf737871, v59 :: v_dual_sub_f32 v53, v53, v55
	v_fmac_f32_e32 v59, 0x3f737871, v56
	v_dual_sub_f32 v60, v37, v36 :: v_dual_sub_f32 v35, v35, v38
	v_sub_f32_e32 v38, v15, v16
	s_barrier_signal -1
	s_delay_alu instid0(VALU_DEP_2) | instskip(SKIP_4) | instid1(VALU_DEP_4)
	v_dual_fmac_f32 v59, 0x3f167918, v57 :: v_dual_add_f32 v58, v58, v60
	v_add_f32_e32 v60, v61, v36
	v_dual_sub_f32 v36, v36, v37 :: v_dual_fmamk_f32 v61, v57, 0x3f737871, v0
	v_fmac_f32_e32 v54, 0xbf167918, v57
	v_fmac_f32_e32 v0, 0xbf737871, v57
	v_add_f32_e32 v37, v60, v37
	s_delay_alu instid0(VALU_DEP_4)
	v_dual_add_f32 v60, v16, v17 :: v_dual_fmac_f32 v61, 0xbf167918, v56
	s_barrier_wait -1
	global_inv scope:SCOPE_SE
	v_sub_f32_e32 v1, v1, v23
	v_fma_f32 v57, -0.5, v60, v9
	v_dual_add_f32 v36, v52, v36 :: v_dual_sub_f32 v23, v11, v14
	s_delay_alu instid0(VALU_DEP_2) | instskip(SKIP_1) | instid1(VALU_DEP_3)
	v_fmamk_f32 v55, v53, 0xbf737871, v57
	v_fmac_f32_e32 v57, 0x3f737871, v53
	v_dual_fmac_f32 v54, 0x3e9e377a, v58 :: v_dual_fmac_f32 v61, 0x3e9e377a, v36
	v_fmac_f32_e32 v59, 0x3e9e377a, v58
	s_delay_alu instid0(VALU_DEP_4) | instskip(SKIP_3) | instid1(VALU_DEP_4)
	v_dual_add_f32 v58, v15, v22 :: v_dual_fmac_f32 v55, 0xbf167918, v35
	v_add_f32_e32 v52, v9, v15
	v_sub_f32_e32 v15, v16, v15
	v_fmac_f32_e32 v57, 0x3f167918, v35
	v_dual_fmac_f32 v9, -0.5, v58 :: v_dual_fmac_f32 v0, 0x3f167918, v56
	v_sub_f32_e32 v56, v22, v17
	s_delay_alu instid0(VALU_DEP_2) | instskip(NEXT) | instid1(VALU_DEP_2)
	v_fmac_f32_e32 v0, 0x3e9e377a, v36
	v_add_f32_e32 v38, v38, v56
	s_delay_alu instid0(VALU_DEP_1) | instskip(SKIP_3) | instid1(VALU_DEP_4)
	v_dual_fmac_f32 v55, 0x3e9e377a, v38 :: v_dual_add_f32 v52, v52, v16
	v_fmac_f32_e32 v57, 0x3e9e377a, v38
	v_fmamk_f32 v38, v35, 0x3f737871, v9
	v_dual_sub_f32 v16, v17, v22 :: v_dual_fmac_f32 v9, 0xbf737871, v35
	v_add_f32_e32 v52, v52, v17
	v_add_f32_e32 v17, v8, v12
                                        ; implicit-def: $vgpr35
	s_delay_alu instid0(VALU_DEP_3) | instskip(NEXT) | instid1(VALU_DEP_3)
	v_add_f32_e32 v15, v15, v16
	v_dual_fmac_f32 v9, 0x3f167918, v53 :: v_dual_add_f32 v36, v52, v22
	v_add_f32_e32 v52, v13, v14
	v_dual_sub_f32 v22, v27, v34 :: v_dual_add_f32 v27, v12, v11
	v_add_f32_e32 v16, v17, v13
	v_fmac_f32_e32 v38, 0xbf167918, v53
	v_fmac_f32_e32 v9, 0x3e9e377a, v15
	v_fma_f32 v75, -0.5, v52, v8
	v_fmac_f32_e32 v8, -0.5, v27
	s_delay_alu instid0(VALU_DEP_4) | instskip(NEXT) | instid1(VALU_DEP_2)
	v_dual_fmac_f32 v38, 0x3e9e377a, v15 :: v_dual_add_f32 v15, v16, v14
	v_dual_sub_f32 v16, v12, v13 :: v_dual_fmamk_f32 v27, v1, 0x3f737871, v8
	s_delay_alu instid0(VALU_DEP_4) | instskip(SKIP_3) | instid1(VALU_DEP_4)
	v_fmamk_f32 v17, v22, 0xbf737871, v75
	v_dual_fmac_f32 v75, 0x3f737871, v22 :: v_dual_sub_f32 v12, v13, v12
	v_dual_sub_f32 v13, v14, v11 :: v_dual_fmac_f32 v8, 0xbf737871, v1
	v_add_f32_e32 v11, v15, v11
	v_dual_fmac_f32 v17, 0xbf167918, v1 :: v_dual_add_f32 v14, v16, v23
	v_fmac_f32_e32 v27, 0xbf167918, v22
	v_fmac_f32_e32 v75, 0x3f167918, v1
	v_dual_add_f32 v1, v12, v13 :: v_dual_fmac_f32 v8, 0x3f167918, v22
	s_delay_alu instid0(VALU_DEP_4) | instskip(NEXT) | instid1(VALU_DEP_3)
	v_fmac_f32_e32 v17, 0x3e9e377a, v14
	v_fmac_f32_e32 v75, 0x3e9e377a, v14
	s_delay_alu instid0(VALU_DEP_3) | instskip(NEXT) | instid1(VALU_DEP_4)
	v_fmac_f32_e32 v27, 0x3e9e377a, v1
	v_fmac_f32_e32 v8, 0x3e9e377a, v1
	ds_store_2addr_b32 v10, v37, v54 offset1:24
	ds_store_2addr_b32 v10, v61, v0 offset0:48 offset1:72
	ds_store_b32 v10, v59 offset:384
	ds_store_2addr_b32 v7, v36, v55 offset1:24
	ds_store_2addr_b32 v7, v38, v9 offset0:48 offset1:72
	ds_store_b32 v7, v57 offset:384
	;; [unrolled: 3-line block ×3, first 2 shown]
	global_wb scope:SCOPE_SE
	s_wait_dscnt 0x0
	s_barrier_signal -1
	s_barrier_wait -1
	global_inv scope:SCOPE_SE
	ds_load_2addr_b32 v[52:53], v19 offset1:120
	ds_load_2addr_b32 v[54:55], v19 offset0:176 offset1:240
	ds_load_2addr_stride64_b32 v[56:57], v2 offset0:4 offset1:5
	ds_load_2addr_stride64_b32 v[60:61], v3 offset0:6 offset1:7
	;; [unrolled: 1-line block ×4, first 2 shown]
	ds_load_b32 v80, v20
	ds_load_b32 v81, v19 offset:3104
                                        ; implicit-def: $vgpr37
	s_and_saveexec_b32 s1, s0
	s_cbranch_execz .LBB0_39
; %bb.38:
	v_add_nc_u32_e32 v0, 0x200, v21
	v_add_nc_u32_e32 v1, 0x600, v21
	;; [unrolled: 1-line block ×3, first 2 shown]
	ds_load_b32 v75, v18
	ds_load_2addr_b32 v[26:27], v0 offset0:104 offset1:224
	ds_load_2addr_b32 v[34:35], v1 offset0:88 offset1:208
	;; [unrolled: 1-line block ×3, first 2 shown]
.LBB0_39:
	s_wait_alu 0xfffe
	s_or_b32 exec_lo, exec_lo, s1
	s_and_saveexec_b32 s1, vcc_lo
	s_cbranch_execz .LBB0_42
; %bb.40:
	v_mul_u32_u24_e32 v0, 6, v72
	v_mul_i32_i24_e32 v38, 6, v39
	v_mad_co_u64_u32 v[68:69], null, s8, v72, 0
	v_add_nc_u32_e32 v93, 0xf0, v72
	s_delay_alu instid0(VALU_DEP_4)
	v_dual_mov_b32 v39, 0 :: v_dual_lshlrev_b32 v2, 3, v0
	v_add_nc_u32_e32 v92, 0x78, v72
	v_add_nc_u32_e32 v94, 0x168, v72
	;; [unrolled: 1-line block ×3, first 2 shown]
	s_clause 0x1
	global_load_b128 v[16:19], v2, s[4:5] offset:976
	global_load_b128 v[20:23], v2, s[4:5] offset:960
	v_lshlrev_b64_e32 v[0:1], 3, v[38:39]
	v_mad_co_u64_u32 v[70:71], null, s8, v92, 0
	v_mad_co_u64_u32 v[84:85], null, s8, v94, 0
	;; [unrolled: 1-line block ×3, first 2 shown]
	s_delay_alu instid0(VALU_DEP_4) | instskip(SKIP_3) | instid1(VALU_DEP_4)
	v_add_co_u32 v0, vcc_lo, s4, v0
	s_wait_alu 0xfffd
	v_add_co_ci_u32_e32 v1, vcc_lo, s5, v1, vcc_lo
	v_add_co_u32 v76, vcc_lo, s10, v28
	v_mov_b32_e32 v67, v89
	s_clause 0x3
	global_load_b128 v[12:15], v[0:1], off offset:960
	global_load_b128 v[4:7], v[0:1], off offset:944
	;; [unrolled: 1-line block ×3, first 2 shown]
	global_load_b128 v[0:3], v2, s[4:5] offset:944
	v_mov_b32_e32 v28, v69
	v_mad_co_u64_u32 v[82:83], null, s8, v93, 0
	v_add_nc_u32_e32 v95, 0x1e0, v72
	s_wait_alu 0xfffd
	v_add_co_ci_u32_e32 v77, vcc_lo, s11, v29, vcc_lo
	v_mul_hi_u32 v29, 0x88888889, v64
	s_delay_alu instid0(VALU_DEP_4) | instskip(SKIP_2) | instid1(VALU_DEP_4)
	v_dual_mov_b32 v65, v85 :: v_dual_mov_b32 v38, v83
	v_mad_co_u64_u32 v[86:87], null, s8, v95, 0
	v_add_nc_u32_e32 v97, 0x2d0, v72
	v_lshrrev_b32_e32 v69, 6, v29
	v_mad_co_u64_u32 v[28:29], null, s9, v72, v[28:29]
	s_delay_alu instid0(VALU_DEP_4) | instskip(NEXT) | instid1(VALU_DEP_4)
	v_dual_mov_b32 v29, v71 :: v_dual_mov_b32 v66, v87
	v_mad_co_u64_u32 v[90:91], null, s8, v97, 0
	s_delay_alu instid0(VALU_DEP_4) | instskip(NEXT) | instid1(VALU_DEP_4)
	v_mad_u32_u24 v105, 0x2d0, v69, v64
	v_mov_b32_e32 v69, v28
	s_delay_alu instid0(VALU_DEP_2)
	v_dual_mov_b32 v64, v91 :: v_dual_add_nc_u32 v107, 0x78, v105
	v_mad_co_u64_u32 v[91:92], null, s9, v92, v[29:30]
	v_mad_co_u64_u32 v[92:93], null, s9, v93, v[38:39]
	;; [unrolled: 1-line block ×7, first 2 shown]
	v_add_nc_u32_e32 v109, 0xf0, v105
	v_add_nc_u32_e32 v110, 0x168, v105
	v_dual_mov_b32 v83, v92 :: v_dual_add_nc_u32 v38, 0x2d0, v105
	v_mad_co_u64_u32 v[99:100], null, s8, v107, 0
	v_mov_b32_e32 v92, v98
	v_mad_co_u64_u32 v[101:102], null, s8, v109, 0
	v_mad_co_u64_u32 v[103:104], null, s8, v110, 0
	v_add_nc_u32_e32 v111, 0x1e0, v105
	v_mad_co_u64_u32 v[66:67], null, s8, v38, 0
	v_mov_b32_e32 v85, v93
	v_mad_co_u64_u32 v[92:93], null, s9, v105, v[92:93]
	v_mov_b32_e32 v87, v94
	v_dual_mov_b32 v93, v100 :: v_dual_mov_b32 v94, v102
	v_dual_mov_b32 v71, v91 :: v_dual_add_nc_u32 v112, 0x258, v105
	v_mad_co_u64_u32 v[28:29], null, s8, v111, 0
	v_lshlrev_b64_e32 v[68:69], 3, v[68:69]
	s_delay_alu instid0(VALU_DEP_4)
	v_mad_co_u64_u32 v[107:108], null, s9, v107, v[93:94]
	v_mov_b32_e32 v89, v95
	v_mov_b32_e32 v95, v104
	v_lshlrev_b64_e32 v[70:71], 3, v[70:71]
	v_lshlrev_b64_e32 v[82:83], 3, v[82:83]
	v_add_co_u32 v105, vcc_lo, v76, v68
	s_delay_alu instid0(VALU_DEP_4) | instskip(SKIP_4) | instid1(VALU_DEP_4)
	v_mad_co_u64_u32 v[93:94], null, s9, v109, v[94:95]
	v_dual_mov_b32 v91, v96 :: v_dual_mov_b32 v96, v67
	s_wait_alu 0xfffd
	v_add_co_ci_u32_e32 v106, vcc_lo, v77, v69, vcc_lo
	v_mad_co_u64_u32 v[108:109], null, s9, v111, v[29:30]
	v_mov_b32_e32 v102, v93
	v_lshlrev_b64_e32 v[84:85], 3, v[84:85]
	v_add_co_u32 v109, vcc_lo, v76, v70
	v_mad_co_u64_u32 v[94:95], null, s9, v110, v[95:96]
	s_wait_alu 0xfffd
	v_add_co_ci_u32_e32 v110, vcc_lo, v77, v71, vcc_lo
	v_mad_co_u64_u32 v[64:65], null, s8, v112, 0
	v_add_co_u32 v82, vcc_lo, v76, v82
	v_mov_b32_e32 v98, v92
	v_lshlrev_b64_e32 v[86:87], 3, v[86:87]
	s_wait_alu 0xfffd
	v_add_co_ci_u32_e32 v83, vcc_lo, v77, v83, vcc_lo
	v_add_co_u32 v84, vcc_lo, v76, v84
	v_mov_b32_e32 v100, v107
	v_lshlrev_b64_e32 v[88:89], 3, v[88:89]
	s_wait_alu 0xfffd
	v_add_co_ci_u32_e32 v85, vcc_lo, v77, v85, vcc_lo
	v_lshlrev_b64_e32 v[90:91], 3, v[90:91]
	v_add_co_u32 v86, vcc_lo, v76, v86
	v_mad_co_u64_u32 v[67:68], null, s9, v112, v[65:66]
	s_wait_alu 0xfffd
	v_add_co_ci_u32_e32 v87, vcc_lo, v77, v87, vcc_lo
	v_add_co_u32 v88, vcc_lo, v76, v88
	v_lshlrev_b64_e32 v[68:69], 3, v[97:98]
	s_wait_alu 0xfffd
	v_add_co_ci_u32_e32 v89, vcc_lo, v77, v89, vcc_lo
	v_add_co_u32 v90, vcc_lo, v76, v90
	v_lshlrev_b64_e32 v[92:93], 3, v[99:100]
	s_wait_alu 0xfffd
	v_add_co_ci_u32_e32 v91, vcc_lo, v77, v91, vcc_lo
	v_mov_b32_e32 v104, v94
	v_lshlrev_b64_e32 v[94:95], 3, v[101:102]
	v_add_co_u32 v97, vcc_lo, v76, v68
	s_wait_alu 0xfffd
	v_add_co_ci_u32_e32 v98, vcc_lo, v77, v69, vcc_lo
	v_add_co_u32 v92, vcc_lo, v76, v92
	s_wait_alu 0xfffd
	v_add_co_ci_u32_e32 v93, vcc_lo, v77, v93, vcc_lo
	;; [unrolled: 3-line block ×3, first 2 shown]
	v_mov_b32_e32 v29, v108
	v_lshlrev_b64_e32 v[70:71], 3, v[103:104]
	s_wait_loadcnt_dscnt 0x503
	v_mul_f32_e32 v99, v63, v17
	s_wait_loadcnt 0x4
	v_dual_mul_f32 v17, v51, v17 :: v_dual_mul_f32 v94, v61, v23
	v_mul_f32_e32 v23, v49, v23
	s_wait_dscnt 0x2
	v_mul_f32_e32 v65, v59, v19
	v_mul_f32_e32 v95, v57, v21
	v_fmac_f32_e32 v17, v63, v16
	v_fma_f32 v49, v49, v22, -v94
	s_wait_loadcnt 0x0
	v_mul_f32_e32 v63, v55, v3
	v_mul_f32_e32 v3, v43, v3
	s_delay_alu instid0(VALU_DEP_1) | instskip(SKIP_4) | instid1(VALU_DEP_2)
	v_fmac_f32_e32 v3, v55, v2
	v_fmac_f32_e32 v23, v61, v22
	v_fma_f32 v22, v51, v16, -v99
	v_mul_f32_e32 v16, v60, v13
	v_mul_f32_e32 v13, v48, v13
	v_fma_f32 v16, v48, v12, -v16
	v_mul_f32_e32 v21, v45, v21
	v_mul_f32_e32 v19, v47, v19
	v_fma_f32 v45, v45, v20, -v95
	v_fmac_f32_e32 v13, v60, v12
	s_delay_alu instid0(VALU_DEP_4)
	v_fmac_f32_e32 v21, v57, v20
	v_fma_f32 v20, v47, v18, -v65
	v_dual_fmac_f32 v19, v59, v18 :: v_dual_mul_f32 v18, v62, v15
	v_mul_f32_e32 v57, v56, v7
	v_mul_f32_e32 v59, v58, v9
	;; [unrolled: 1-line block ×3, first 2 shown]
	v_sub_f32_e32 v65, v49, v45
	v_mul_f32_e32 v7, v44, v7
	v_fma_f32 v18, v50, v14, -v18
	v_fma_f32 v12, v44, v6, -v57
	v_fmac_f32_e32 v9, v58, v8
	v_add_f32_e32 v45, v49, v45
	v_fmac_f32_e32 v7, v56, v6
	v_fma_f32 v6, v43, v2, -v63
	v_sub_f32_e32 v2, v18, v16
	v_add_f32_e32 v16, v18, v16
	v_mul_f32_e32 v15, v50, v15
	v_add_f32_e32 v43, v7, v9
	v_mul_f32_e32 v47, v54, v5
	v_mul_f32_e32 v5, v42, v5
	s_delay_alu instid0(VALU_DEP_4) | instskip(NEXT) | instid1(VALU_DEP_3)
	v_dual_add_f32 v18, v3, v17 :: v_dual_fmac_f32 v15, v62, v14
	v_fma_f32 v14, v42, v4, -v47
	v_fma_f32 v42, v46, v8, -v59
	s_delay_alu instid0(VALU_DEP_1) | instskip(SKIP_2) | instid1(VALU_DEP_2)
	v_dual_fmac_f32 v5, v54, v4 :: v_dual_sub_f32 v8, v12, v42
	v_dual_add_f32 v12, v12, v42 :: v_dual_mul_f32 v61, v53, v1
	v_mul_f32_e32 v1, v41, v1
	v_dual_add_f32 v49, v23, v21 :: v_dual_sub_f32 v44, v16, v12
	s_delay_alu instid0(VALU_DEP_3)
	v_fma_f32 v4, v41, v0, -v61
	v_add_f32_e32 v41, v15, v13
	s_wait_dscnt 0x0
	v_mul_f32_e32 v51, v81, v11
	v_sub_f32_e32 v21, v23, v21
	v_fmac_f32_e32 v1, v53, v0
	v_sub_f32_e32 v53, v49, v18
	s_delay_alu instid0(VALU_DEP_4) | instskip(NEXT) | instid1(VALU_DEP_1)
	v_fma_f32 v23, v79, v10, -v51
	v_sub_f32_e32 v0, v14, v23
	v_add_f32_e32 v14, v14, v23
	s_delay_alu instid0(VALU_DEP_1) | instskip(NEXT) | instid1(VALU_DEP_1)
	v_dual_mul_f32 v11, v79, v11 :: v_dual_add_f32 v46, v14, v12
	v_dual_fmac_f32 v11, v81, v10 :: v_dual_sub_f32 v42, v14, v16
	v_sub_f32_e32 v12, v12, v14
	s_delay_alu instid0(VALU_DEP_3) | instskip(NEXT) | instid1(VALU_DEP_3)
	v_add_f32_e32 v16, v16, v46
	v_dual_add_f32 v10, v5, v11 :: v_dual_sub_f32 v7, v7, v9
	v_sub_f32_e32 v9, v4, v20
	v_add_f32_e32 v4, v4, v20
	s_delay_alu instid0(VALU_DEP_3)
	v_dual_sub_f32 v20, v10, v41 :: v_dual_sub_f32 v5, v5, v11
	v_sub_f32_e32 v11, v15, v13
	v_sub_f32_e32 v13, v6, v22
	v_dual_add_f32 v15, v1, v19 :: v_dual_add_f32 v6, v6, v22
	v_sub_f32_e32 v1, v1, v19
	v_sub_f32_e32 v3, v3, v17
	v_sub_f32_e32 v17, v0, v2
	v_sub_f32_e32 v19, v2, v8
	v_dual_add_f32 v2, v2, v8 :: v_dual_sub_f32 v51, v15, v49
	v_add_f32_e32 v54, v15, v18
	v_dual_add_f32 v57, v4, v6 :: v_dual_sub_f32 v58, v1, v21
	v_sub_f32_e32 v59, v21, v3
	v_add_f32_e32 v21, v21, v3
	v_dual_sub_f32 v15, v18, v15 :: v_dual_add_f32 v18, v0, v2
	v_dual_sub_f32 v55, v4, v45 :: v_dual_sub_f32 v56, v45, v6
	v_sub_f32_e32 v4, v6, v4
	v_dual_sub_f32 v6, v3, v1 :: v_dual_mul_f32 v3, 0xbf08b237, v19
	v_dual_mul_f32 v2, 0x3f4a47b2, v20 :: v_dual_add_f32 v49, v49, v54
	s_delay_alu instid0(VALU_DEP_4) | instskip(SKIP_1) | instid1(VALU_DEP_4)
	v_mul_f32_e32 v54, 0x3d64c772, v56
	v_mul_f32_e32 v56, 0xbf08b237, v59
	v_fmamk_f32 v60, v17, 0x3eae86e6, v3
	v_sub_f32_e32 v22, v41, v43
	v_dual_add_f32 v23, v10, v43 :: v_dual_sub_f32 v8, v8, v0
	v_dual_add_f32 v45, v45, v57 :: v_dual_add_f32 v0, v78, v16
	s_delay_alu instid0(VALU_DEP_2) | instskip(SKIP_3) | instid1(VALU_DEP_4)
	v_dual_mul_f32 v19, 0x3d64c772, v22 :: v_dual_add_f32 v22, v41, v23
	v_mul_f32_e32 v41, 0x3d64c772, v44
	v_mul_f32_e32 v23, 0x3f4a47b2, v42
	v_sub_f32_e32 v10, v43, v10
	v_fmamk_f32 v20, v20, 0x3f4a47b2, v19
	v_sub_f32_e32 v14, v9, v65
	v_dual_fmamk_f32 v42, v42, 0x3f4a47b2, v41 :: v_dual_sub_f32 v47, v5, v11
	v_sub_f32_e32 v48, v11, v7
	v_add_f32_e32 v11, v11, v7
	v_sub_f32_e32 v7, v7, v5
	v_mul_f32_e32 v59, 0x3f5ff5aa, v6
	v_fma_f32 v23, 0xbf3bfb3b, v12, -v23
	s_delay_alu instid0(VALU_DEP_4) | instskip(NEXT) | instid1(VALU_DEP_4)
	v_dual_mul_f32 v44, 0xbf08b237, v48 :: v_dual_add_f32 v5, v5, v11
	v_dual_mul_f32 v11, 0x3f5ff5aa, v8 :: v_dual_mul_f32 v46, 0x3f5ff5aa, v7
	v_mul_f32_e32 v48, 0x3f4a47b2, v51
	v_fma_f32 v8, 0x3f5ff5aa, v8, -v3
	v_add_f32_e32 v3, v52, v49
	s_delay_alu instid0(VALU_DEP_4)
	v_fma_f32 v11, 0xbeae86e6, v17, -v11
	v_fma_f32 v17, 0xbf3bfb3b, v10, -v2
	v_add_f32_e32 v2, v40, v45
	v_dual_fmamk_f32 v40, v58, 0x3eae86e6, v56 :: v_dual_add_f32 v21, v1, v21
	v_fma_f32 v10, 0x3f3bfb3b, v10, -v19
	v_fma_f32 v19, 0x3f5ff5aa, v7, -v44
	v_add_f32_e32 v1, v80, v22
	v_fma_f32 v7, 0x3f3bfb3b, v12, -v41
	v_fmac_f32_e32 v40, 0x3ee1c552, v21
	v_fmamk_f32 v61, v47, 0x3eae86e6, v44
	v_dual_fmamk_f32 v44, v55, 0x3f4a47b2, v54 :: v_dual_sub_f32 v43, v65, v13
	v_add_f32_e32 v50, v65, v13
	v_sub_f32_e32 v13, v13, v9
	v_fma_f32 v46, 0xbeae86e6, v47, -v46
	v_fmac_f32_e32 v61, 0x3ee1c552, v5
	v_mul_f32_e32 v43, 0xbf08b237, v43
	v_dual_add_f32 v9, v9, v50 :: v_dual_mul_f32 v50, 0x3d64c772, v53
	v_mul_f32_e32 v53, 0x3f4a47b2, v55
	v_mul_f32_e32 v57, 0x3f5ff5aa, v13
	s_delay_alu instid0(VALU_DEP_4)
	v_fmamk_f32 v41, v14, 0x3eae86e6, v43
	v_fma_f32 v43, 0x3f5ff5aa, v13, -v43
	v_fmamk_f32 v12, v51, 0x3f4a47b2, v50
	v_fma_f32 v51, 0xbeae86e6, v58, -v59
	v_fma_f32 v47, 0xbeae86e6, v14, -v57
	;; [unrolled: 1-line block ×6, first 2 shown]
	v_dual_fmamk_f32 v6, v22, 0xbf955555, v1 :: v_dual_fmamk_f32 v13, v16, 0xbf955555, v0
	v_fmac_f32_e32 v46, 0x3ee1c552, v5
	v_fmac_f32_e32 v19, 0x3ee1c552, v5
	v_fmamk_f32 v5, v49, 0xbf955555, v3
	v_fmamk_f32 v16, v45, 0xbf955555, v2
	v_fmac_f32_e32 v60, 0x3ee1c552, v18
	v_fmac_f32_e32 v11, 0x3ee1c552, v18
	v_dual_fmac_f32 v8, 0x3ee1c552, v18 :: v_dual_fmac_f32 v41, 0x3ee1c552, v9
	v_dual_fmac_f32 v51, 0x3ee1c552, v21 :: v_dual_add_f32 v18, v20, v6
	v_add_f32_e32 v20, v42, v13
	v_add_f32_e32 v22, v12, v5
	;; [unrolled: 1-line block ×4, first 2 shown]
	v_fma_f32 v4, 0x3f3bfb3b, v4, -v54
	v_dual_fmac_f32 v50, 0x3ee1c552, v21 :: v_dual_add_f32 v17, v17, v6
	v_add_f32_e32 v21, v23, v13
	v_add_f32_e32 v23, v14, v5
	;; [unrolled: 1-line block ×4, first 2 shown]
	v_dual_sub_f32 v41, v22, v41 :: v_dual_add_f32 v22, v51, v44
	v_fmac_f32_e32 v47, 0x3ee1c552, v9
	v_fmac_f32_e32 v43, 0x3ee1c552, v9
	v_dual_add_f32 v9, v10, v6 :: v_dual_add_f32 v10, v7, v13
	v_add_f32_e32 v16, v4, v16
	v_sub_f32_e32 v14, v42, v40
	v_dual_add_f32 v40, v40, v42 :: v_dual_add_f32 v5, v11, v17
	v_sub_f32_e32 v11, v17, v11
	v_add_f32_e32 v17, v47, v23
	v_sub_f32_e32 v23, v23, v47
	global_store_b64 v[105:106], v[2:3], off
	v_sub_f32_e32 v2, v20, v61
	v_sub_f32_e32 v4, v21, v46
	v_dual_sub_f32 v7, v9, v8 :: v_dual_add_f32 v6, v19, v10
	v_dual_add_f32 v9, v8, v9 :: v_dual_sub_f32 v8, v10, v19
	v_add_f32_e32 v10, v46, v21
	v_dual_add_f32 v12, v61, v20 :: v_dual_add_f32 v21, v43, v45
	v_sub_f32_e32 v20, v16, v50
	v_add_f32_e32 v3, v60, v18
	v_sub_f32_e32 v13, v18, v60
	v_dual_sub_f32 v19, v45, v43 :: v_dual_add_f32 v18, v50, v16
	v_sub_f32_e32 v16, v44, v51
	s_clause 0x7
	global_store_b64 v[109:110], v[40:41], off
	global_store_b64 v[82:83], v[22:23], off
	;; [unrolled: 1-line block ×8, first 2 shown]
	v_mad_co_u64_u32 v[0:1], null, s9, v38, v[96:97]
	v_lshlrev_b64_e32 v[12:13], 3, v[28:29]
	v_mov_b32_e32 v65, v67
	v_add_co_u32 v14, vcc_lo, v76, v70
	s_wait_alu 0xfffd
	v_add_co_ci_u32_e32 v15, vcc_lo, v77, v71, vcc_lo
	v_mov_b32_e32 v67, v0
	v_lshlrev_b64_e32 v[16:17], 3, v[64:65]
	v_add_co_u32 v0, vcc_lo, v76, v12
	s_wait_alu 0xfffd
	v_add_co_ci_u32_e32 v1, vcc_lo, v77, v13, vcc_lo
	v_lshlrev_b64_e32 v[12:13], 3, v[66:67]
	s_delay_alu instid0(VALU_DEP_4) | instskip(SKIP_2) | instid1(VALU_DEP_3)
	v_add_co_u32 v16, vcc_lo, v76, v16
	s_wait_alu 0xfffd
	v_add_co_ci_u32_e32 v17, vcc_lo, v77, v17, vcc_lo
	v_add_co_u32 v12, vcc_lo, v76, v12
	s_wait_alu 0xfffd
	v_add_co_ci_u32_e32 v13, vcc_lo, v77, v13, vcc_lo
	s_clause 0x4
	global_store_b64 v[68:69], v[10:11], off
	global_store_b64 v[14:15], v[8:9], off
	;; [unrolled: 1-line block ×5, first 2 shown]
	s_and_b32 exec_lo, exec_lo, s0
	s_cbranch_execz .LBB0_42
; %bb.41:
	v_add_nc_u32_e32 v0, -8, v72
	v_or_b32_e32 v40, 0xe8, v72
	v_or_b32_e32 v41, 0x160, v72
	;; [unrolled: 1-line block ×4, first 2 shown]
	v_cndmask_b32_e64 v0, v0, v73, s0
	v_mad_co_u64_u32 v[14:15], null, s8, v40, 0
	v_mad_co_u64_u32 v[16:17], null, s8, v41, 0
	s_delay_alu instid0(VALU_DEP_3) | instskip(SKIP_3) | instid1(VALU_DEP_4)
	v_mul_i32_i24_e32 v38, 6, v0
	v_or_b32_e32 v44, 0x2c8, v72
	v_mad_co_u64_u32 v[18:19], null, s8, v42, 0
	v_mad_co_u64_u32 v[20:21], null, s8, v43, 0
	v_lshlrev_b64_e32 v[0:1], 3, v[38:39]
	v_or_b32_e32 v38, 0x70, v72
	v_mad_co_u64_u32 v[22:23], null, s8, v44, 0
	v_or_b32_e32 v45, 0x340, v72
	s_delay_alu instid0(VALU_DEP_4)
	v_add_co_u32 v8, vcc_lo, s4, v0
	s_wait_alu 0xfffd
	v_add_co_ci_u32_e32 v9, vcc_lo, s5, v1, vcc_lo
	v_mad_co_u64_u32 v[12:13], null, s8, v38, 0
	s_clause 0x2
	global_load_b128 v[0:3], v[8:9], off offset:944
	global_load_b128 v[4:7], v[8:9], off offset:960
	;; [unrolled: 1-line block ×3, first 2 shown]
	v_mad_co_u64_u32 v[28:29], null, s8, v45, 0
	v_mad_co_u64_u32 v[38:39], null, s9, v38, v[13:14]
	;; [unrolled: 1-line block ×5, first 2 shown]
	s_delay_alu instid0(VALU_DEP_4)
	v_mov_b32_e32 v13, v38
	v_mad_co_u64_u32 v[42:43], null, s9, v43, v[21:22]
	v_mov_b32_e32 v15, v39
	v_mad_co_u64_u32 v[43:44], null, s9, v44, v[23:24]
	v_mov_b32_e32 v17, v40
	v_mov_b32_e32 v19, v41
	v_mad_co_u64_u32 v[44:45], null, s9, v45, v[29:30]
	v_lshlrev_b64_e32 v[12:13], 3, v[12:13]
	s_delay_alu instid0(VALU_DEP_1) | instskip(SKIP_1) | instid1(VALU_DEP_2)
	v_add_co_u32 v12, vcc_lo, v76, v12
	s_wait_alu 0xfffd
	v_add_co_ci_u32_e32 v13, vcc_lo, v77, v13, vcc_lo
	s_wait_loadcnt 0x2
	v_mul_f32_e32 v38, v26, v1
	v_mul_f32_e32 v1, v24, v1
	s_wait_loadcnt 0x1
	v_mul_f32_e32 v40, v34, v5
	v_mul_f32_e32 v5, v32, v5
	v_lshlrev_b64_e32 v[14:15], 3, v[14:15]
	v_fma_f32 v24, v24, v0, -v38
	v_mul_f32_e32 v39, v27, v3
	v_fmac_f32_e32 v1, v26, v0
	v_mov_b32_e32 v23, v43
	v_fmac_f32_e32 v5, v34, v4
	v_lshlrev_b64_e32 v[16:17], 3, v[16:17]
	v_fma_f32 v0, v25, v2, -v39
	v_mul_f32_e32 v3, v25, v3
	v_add_co_u32 v14, vcc_lo, v76, v14
	s_wait_alu 0xfffd
	v_add_co_ci_u32_e32 v15, vcc_lo, v77, v15, vcc_lo
	s_delay_alu instid0(VALU_DEP_3)
	v_fmac_f32_e32 v3, v27, v2
	v_fma_f32 v2, v32, v4, -v40
	v_mul_f32_e32 v41, v35, v7
	v_mul_f32_e32 v7, v33, v7
	v_add_co_u32 v16, vcc_lo, v76, v16
	s_wait_alu 0xfffd
	v_add_co_ci_u32_e32 v17, vcc_lo, v77, v17, vcc_lo
	s_delay_alu instid0(VALU_DEP_3)
	v_fmac_f32_e32 v7, v35, v6
	s_wait_loadcnt 0x0
	v_mul_f32_e32 v43, v37, v11
	v_mul_f32_e32 v11, v31, v11
	v_fma_f32 v4, v33, v6, -v41
	v_mov_b32_e32 v29, v44
	s_delay_alu instid0(VALU_DEP_4) | instskip(SKIP_3) | instid1(VALU_DEP_3)
	v_fma_f32 v25, v31, v10, -v43
	v_dual_mov_b32 v21, v42 :: v_dual_mul_f32 v42, v36, v9
	v_fmac_f32_e32 v11, v37, v10
	v_lshlrev_b64_e32 v[18:19], 3, v[18:19]
	v_fma_f32 v6, v30, v8, -v42
	s_delay_alu instid0(VALU_DEP_3)
	v_add_f32_e32 v10, v1, v11
	v_sub_f32_e32 v1, v1, v11
	v_lshlrev_b64_e32 v[22:23], 3, v[22:23]
	v_add_co_u32 v18, vcc_lo, v76, v18
	v_add_f32_e32 v11, v0, v6
	v_sub_f32_e32 v0, v0, v6
	v_add_f32_e32 v6, v2, v4
	v_dual_sub_f32 v2, v4, v2 :: v_dual_mul_f32 v9, v30, v9
	v_sub_f32_e32 v4, v7, v5
	s_wait_alu 0xfffd
	v_add_co_ci_u32_e32 v19, vcc_lo, v77, v19, vcc_lo
	s_delay_alu instid0(VALU_DEP_3)
	v_add_f32_e32 v30, v2, v0
	v_fmac_f32_e32 v9, v36, v8
	v_add_f32_e32 v8, v24, v25
	v_sub_f32_e32 v24, v24, v25
	v_sub_f32_e32 v32, v2, v0
	v_lshlrev_b64_e32 v[20:21], 3, v[20:21]
	v_lshlrev_b64_e32 v[28:29], 3, v[28:29]
	v_sub_f32_e32 v26, v11, v8
	v_dual_sub_f32 v2, v24, v2 :: v_dual_add_f32 v25, v3, v9
	v_dual_sub_f32 v3, v3, v9 :: v_dual_sub_f32 v34, v0, v24
	v_add_co_u32 v20, vcc_lo, v76, v20
	s_delay_alu instid0(VALU_DEP_3) | instskip(NEXT) | instid1(VALU_DEP_3)
	v_sub_f32_e32 v27, v25, v10
	v_add_f32_e32 v31, v4, v3
	v_dual_sub_f32 v33, v4, v3 :: v_dual_sub_f32 v4, v1, v4
	v_add_f32_e32 v9, v5, v7
	v_add_f32_e32 v5, v11, v8
	v_dual_sub_f32 v11, v6, v11 :: v_dual_sub_f32 v8, v8, v6
	s_wait_alu 0xfffd
	v_add_co_ci_u32_e32 v21, vcc_lo, v77, v21, vcc_lo
	s_delay_alu instid0(VALU_DEP_3) | instskip(SKIP_3) | instid1(VALU_DEP_4)
	v_add_f32_e32 v5, v6, v5
	v_dual_add_f32 v7, v25, v10 :: v_dual_sub_f32 v10, v10, v9
	v_mul_f32_e32 v8, 0x3f4a47b2, v8
	v_add_co_u32 v22, vcc_lo, v76, v22
	v_add_f32_e32 v0, v74, v5
	s_delay_alu instid0(VALU_DEP_4)
	v_dual_add_f32 v6, v9, v7 :: v_dual_add_f32 v7, v30, v24
	v_mul_f32_e32 v24, 0x3d64c772, v11
	v_mul_f32_e32 v10, 0x3f4a47b2, v10
	v_fmamk_f32 v11, v11, 0x3d64c772, v8
	v_fma_f32 v8, 0xbf3bfb3b, v26, -v8
	s_wait_alu 0xfffd
	v_add_co_ci_u32_e32 v23, vcc_lo, v77, v23, vcc_lo
	v_fma_f32 v24, 0x3f3bfb3b, v26, -v24
	v_sub_f32_e32 v25, v9, v25
	v_add_f32_e32 v9, v31, v1
	v_dual_mul_f32 v31, 0xbf08b237, v32 :: v_dual_mul_f32 v32, 0xbf08b237, v33
	v_mul_f32_e32 v33, 0x3f5ff5aa, v34
	s_delay_alu instid0(VALU_DEP_4) | instskip(NEXT) | instid1(VALU_DEP_3)
	v_dual_mul_f32 v30, 0x3d64c772, v25 :: v_dual_fmamk_f32 v25, v25, 0x3d64c772, v10
	v_fmamk_f32 v26, v2, 0x3eae86e6, v31
	v_fma_f32 v10, 0xbf3bfb3b, v27, -v10
	s_delay_alu instid0(VALU_DEP_4) | instskip(SKIP_4) | instid1(VALU_DEP_4)
	v_fma_f32 v33, 0xbeae86e6, v2, -v33
	v_dual_fmamk_f32 v2, v5, 0xbf955555, v0 :: v_dual_sub_f32 v3, v3, v1
	v_add_f32_e32 v1, v75, v6
	v_fma_f32 v30, 0x3f3bfb3b, v27, -v30
	v_fmamk_f32 v27, v4, 0x3eae86e6, v32
	v_add_f32_e32 v8, v8, v2
	v_fma_f32 v32, 0x3f5ff5aa, v3, -v32
	v_mul_f32_e32 v35, 0x3f5ff5aa, v3
	v_dual_fmamk_f32 v3, v6, 0xbf955555, v1 :: v_dual_add_f32 v6, v24, v2
	v_fma_f32 v31, 0x3f5ff5aa, v34, -v31
	s_delay_alu instid0(VALU_DEP_4) | instskip(NEXT) | instid1(VALU_DEP_4)
	v_fmac_f32_e32 v32, 0x3ee1c552, v9
	v_fma_f32 v34, 0xbeae86e6, v4, -v35
	v_add_f32_e32 v11, v11, v2
	global_store_b64 v[12:13], v[0:1], off
	v_add_f32_e32 v12, v25, v3
	v_sub_f32_e32 v4, v6, v32
	v_dual_add_f32 v6, v32, v6 :: v_dual_fmac_f32 v27, 0x3ee1c552, v9
	v_dual_fmac_f32 v34, 0x3ee1c552, v9 :: v_dual_add_f32 v9, v10, v3
	v_add_co_u32 v28, vcc_lo, v76, v28
	s_delay_alu instid0(VALU_DEP_3) | instskip(SKIP_4) | instid1(VALU_DEP_4)
	v_add_f32_e32 v0, v27, v11
	v_fmac_f32_e32 v26, 0x3ee1c552, v7
	v_fmac_f32_e32 v33, 0x3ee1c552, v7
	;; [unrolled: 1-line block ×3, first 2 shown]
	v_add_f32_e32 v7, v30, v3
	v_dual_add_f32 v2, v34, v8 :: v_dual_sub_f32 v1, v12, v26
	s_delay_alu instid0(VALU_DEP_4) | instskip(NEXT) | instid1(VALU_DEP_3)
	v_dual_sub_f32 v3, v9, v33 :: v_dual_sub_f32 v8, v8, v34
	v_add_f32_e32 v5, v31, v7
	v_sub_f32_e32 v7, v7, v31
	v_add_f32_e32 v9, v33, v9
	s_wait_alu 0xfffd
	v_add_co_ci_u32_e32 v29, vcc_lo, v77, v29, vcc_lo
	v_dual_sub_f32 v10, v11, v27 :: v_dual_add_f32 v11, v26, v12
	s_clause 0x5
	global_store_b64 v[14:15], v[0:1], off
	global_store_b64 v[16:17], v[2:3], off
	;; [unrolled: 1-line block ×6, first 2 shown]
.LBB0_42:
	s_nop 0
	s_sendmsg sendmsg(MSG_DEALLOC_VGPRS)
	s_endpgm
	.section	.rodata,"a",@progbits
	.p2align	6, 0x0
	.amdhsa_kernel fft_rtc_fwd_len840_factors_2_2_2_3_5_7_wgs_56_tpt_56_halfLds_sp_ip_CI_sbrr_dirReg
		.amdhsa_group_segment_fixed_size 0
		.amdhsa_private_segment_fixed_size 0
		.amdhsa_kernarg_size 88
		.amdhsa_user_sgpr_count 2
		.amdhsa_user_sgpr_dispatch_ptr 0
		.amdhsa_user_sgpr_queue_ptr 0
		.amdhsa_user_sgpr_kernarg_segment_ptr 1
		.amdhsa_user_sgpr_dispatch_id 0
		.amdhsa_user_sgpr_private_segment_size 0
		.amdhsa_wavefront_size32 1
		.amdhsa_uses_dynamic_stack 0
		.amdhsa_enable_private_segment 0
		.amdhsa_system_sgpr_workgroup_id_x 1
		.amdhsa_system_sgpr_workgroup_id_y 0
		.amdhsa_system_sgpr_workgroup_id_z 0
		.amdhsa_system_sgpr_workgroup_info 0
		.amdhsa_system_vgpr_workitem_id 0
		.amdhsa_next_free_vgpr 113
		.amdhsa_next_free_sgpr 35
		.amdhsa_reserve_vcc 1
		.amdhsa_float_round_mode_32 0
		.amdhsa_float_round_mode_16_64 0
		.amdhsa_float_denorm_mode_32 3
		.amdhsa_float_denorm_mode_16_64 3
		.amdhsa_fp16_overflow 0
		.amdhsa_workgroup_processor_mode 1
		.amdhsa_memory_ordered 1
		.amdhsa_forward_progress 0
		.amdhsa_round_robin_scheduling 0
		.amdhsa_exception_fp_ieee_invalid_op 0
		.amdhsa_exception_fp_denorm_src 0
		.amdhsa_exception_fp_ieee_div_zero 0
		.amdhsa_exception_fp_ieee_overflow 0
		.amdhsa_exception_fp_ieee_underflow 0
		.amdhsa_exception_fp_ieee_inexact 0
		.amdhsa_exception_int_div_zero 0
	.end_amdhsa_kernel
	.text
.Lfunc_end0:
	.size	fft_rtc_fwd_len840_factors_2_2_2_3_5_7_wgs_56_tpt_56_halfLds_sp_ip_CI_sbrr_dirReg, .Lfunc_end0-fft_rtc_fwd_len840_factors_2_2_2_3_5_7_wgs_56_tpt_56_halfLds_sp_ip_CI_sbrr_dirReg
                                        ; -- End function
	.section	.AMDGPU.csdata,"",@progbits
; Kernel info:
; codeLenInByte = 12740
; NumSgprs: 37
; NumVgprs: 113
; ScratchSize: 0
; MemoryBound: 0
; FloatMode: 240
; IeeeMode: 1
; LDSByteSize: 0 bytes/workgroup (compile time only)
; SGPRBlocks: 4
; VGPRBlocks: 14
; NumSGPRsForWavesPerEU: 37
; NumVGPRsForWavesPerEU: 113
; Occupancy: 12
; WaveLimiterHint : 1
; COMPUTE_PGM_RSRC2:SCRATCH_EN: 0
; COMPUTE_PGM_RSRC2:USER_SGPR: 2
; COMPUTE_PGM_RSRC2:TRAP_HANDLER: 0
; COMPUTE_PGM_RSRC2:TGID_X_EN: 1
; COMPUTE_PGM_RSRC2:TGID_Y_EN: 0
; COMPUTE_PGM_RSRC2:TGID_Z_EN: 0
; COMPUTE_PGM_RSRC2:TIDIG_COMP_CNT: 0
	.text
	.p2alignl 7, 3214868480
	.fill 96, 4, 3214868480
	.type	__hip_cuid_6be91d546ca8241b,@object ; @__hip_cuid_6be91d546ca8241b
	.section	.bss,"aw",@nobits
	.globl	__hip_cuid_6be91d546ca8241b
__hip_cuid_6be91d546ca8241b:
	.byte	0                               ; 0x0
	.size	__hip_cuid_6be91d546ca8241b, 1

	.ident	"AMD clang version 19.0.0git (https://github.com/RadeonOpenCompute/llvm-project roc-6.4.0 25133 c7fe45cf4b819c5991fe208aaa96edf142730f1d)"
	.section	".note.GNU-stack","",@progbits
	.addrsig
	.addrsig_sym __hip_cuid_6be91d546ca8241b
	.amdgpu_metadata
---
amdhsa.kernels:
  - .args:
      - .actual_access:  read_only
        .address_space:  global
        .offset:         0
        .size:           8
        .value_kind:     global_buffer
      - .offset:         8
        .size:           8
        .value_kind:     by_value
      - .actual_access:  read_only
        .address_space:  global
        .offset:         16
        .size:           8
        .value_kind:     global_buffer
      - .actual_access:  read_only
        .address_space:  global
        .offset:         24
        .size:           8
        .value_kind:     global_buffer
      - .offset:         32
        .size:           8
        .value_kind:     by_value
      - .actual_access:  read_only
        .address_space:  global
        .offset:         40
        .size:           8
        .value_kind:     global_buffer
      - .actual_access:  read_only
        .address_space:  global
        .offset:         48
        .size:           8
        .value_kind:     global_buffer
      - .offset:         56
        .size:           4
        .value_kind:     by_value
      - .actual_access:  read_only
        .address_space:  global
        .offset:         64
        .size:           8
        .value_kind:     global_buffer
      - .actual_access:  read_only
        .address_space:  global
        .offset:         72
        .size:           8
        .value_kind:     global_buffer
      - .address_space:  global
        .offset:         80
        .size:           8
        .value_kind:     global_buffer
    .group_segment_fixed_size: 0
    .kernarg_segment_align: 8
    .kernarg_segment_size: 88
    .language:       OpenCL C
    .language_version:
      - 2
      - 0
    .max_flat_workgroup_size: 56
    .name:           fft_rtc_fwd_len840_factors_2_2_2_3_5_7_wgs_56_tpt_56_halfLds_sp_ip_CI_sbrr_dirReg
    .private_segment_fixed_size: 0
    .sgpr_count:     37
    .sgpr_spill_count: 0
    .symbol:         fft_rtc_fwd_len840_factors_2_2_2_3_5_7_wgs_56_tpt_56_halfLds_sp_ip_CI_sbrr_dirReg.kd
    .uniform_work_group_size: 1
    .uses_dynamic_stack: false
    .vgpr_count:     113
    .vgpr_spill_count: 0
    .wavefront_size: 32
    .workgroup_processor_mode: 1
amdhsa.target:   amdgcn-amd-amdhsa--gfx1201
amdhsa.version:
  - 1
  - 2
...

	.end_amdgpu_metadata
